;; amdgpu-corpus repo=ROCm/rocm-examples kind=compiled arch=gfx906 opt=O3
	.amdgcn_target "amdgcn-amd-amdhsa--gfx906"
	.amdhsa_code_object_version 6
	.section	.text._Z14transposeNaiveIiEvPT_PKS0_m,"axG",@progbits,_Z14transposeNaiveIiEvPT_PKS0_m,comdat
	.protected	_Z14transposeNaiveIiEvPT_PKS0_m ; -- Begin function _Z14transposeNaiveIiEvPT_PKS0_m
	.globl	_Z14transposeNaiveIiEvPT_PKS0_m
	.p2align	8
	.type	_Z14transposeNaiveIiEvPT_PKS0_m,@function
_Z14transposeNaiveIiEvPT_PKS0_m:        ; @_Z14transposeNaiveIiEvPT_PKS0_m
; %bb.0:
	v_cmp_gt_u32_e32 vcc, 64, v1
	s_and_saveexec_b64 s[0:1], vcc
	s_cbranch_execz .LBB0_3
; %bb.1:
	s_load_dwordx2 s[8:9], s[4:5], 0x10
	s_load_dwordx4 s[0:3], s[4:5], 0x0
	v_lshl_add_u32 v5, s6, 6, v0
	s_load_dword s6, s[4:5], 0x24
	v_mov_b32_e32 v6, 0
	s_waitcnt lgkmcnt(0)
	v_mad_u64_u32 v[3:4], s[10:11], s8, v5, 0
	s_mov_b32 s11, 0
	s_lshl_b32 s10, s7, 6
	v_mov_b32_e32 v0, v4
	v_mad_u64_u32 v[7:8], s[4:5], s9, v5, v[0:1]
	v_lshlrev_b32_e32 v0, 2, v1
	s_lshr_b32 s4, s6, 16
	v_mov_b32_e32 v4, v7
	v_lshlrev_b64 v[3:4], 2, v[3:4]
	s_lshl_b64 s[6:7], s[10:11], 2
	v_add_co_u32_e32 v0, vcc, v3, v0
	v_addc_co_u32_e32 v4, vcc, 0, v4, vcc
	s_add_u32 s5, s0, s6
	s_addc_u32 s0, s1, s7
	v_add_co_u32_e32 v3, vcc, s10, v1
	v_mov_b32_e32 v9, s0
	v_addc_co_u32_e64 v7, s[0:1], 0, 0, vcc
	v_mul_lo_u32 v10, s9, v3
	v_mul_lo_u32 v11, s8, v7
	v_mad_u64_u32 v[7:8], s[0:1], s8, v3, 0
	v_mov_b32_e32 v2, v6
	v_add_co_u32_e32 v3, vcc, s5, v0
	v_add3_u32 v8, v8, v11, v10
	v_lshlrev_b64 v[7:8], 2, v[7:8]
	v_lshlrev_b64 v[5:6], 2, v[5:6]
	v_addc_co_u32_e32 v4, vcc, v9, v4, vcc
	v_add_co_u32_e32 v0, vcc, v7, v5
	s_mul_i32 s0, s9, s4
	s_mul_hi_u32 s1, s8, s4
	v_addc_co_u32_e32 v6, vcc, v8, v6, vcc
	s_add_i32 s1, s1, s0
	s_mul_i32 s0, s8, s4
	v_mov_b32_e32 v7, s3
	v_add_co_u32_e32 v5, vcc, s2, v0
	s_lshl_b64 s[0:1], s[0:1], 2
	s_lshl_b32 s5, s4, 2
	v_addc_co_u32_e32 v6, vcc, v7, v6, vcc
	s_mov_b64 s[2:3], 0
	v_mov_b32_e32 v0, s1
.LBB0_2:                                ; =>This Inner Loop Header: Depth=1
	global_load_dword v7, v[5:6], off
	v_add_co_u32_e32 v1, vcc, s4, v1
	v_addc_co_u32_e32 v2, vcc, 0, v2, vcc
	v_add_co_u32_e32 v5, vcc, s0, v5
	v_addc_co_u32_e32 v6, vcc, v6, v0, vcc
	v_cmp_lt_u64_e32 vcc, 63, v[1:2]
	s_or_b64 s[2:3], vcc, s[2:3]
	s_waitcnt vmcnt(0)
	global_store_dword v[3:4], v7, off
	v_add_co_u32_e32 v3, vcc, s5, v3
	v_addc_co_u32_e32 v4, vcc, 0, v4, vcc
	s_andn2_b64 exec, exec, s[2:3]
	s_cbranch_execnz .LBB0_2
.LBB0_3:
	s_endpgm
	.section	.rodata,"a",@progbits
	.p2align	6, 0x0
	.amdhsa_kernel _Z14transposeNaiveIiEvPT_PKS0_m
		.amdhsa_group_segment_fixed_size 0
		.amdhsa_private_segment_fixed_size 0
		.amdhsa_kernarg_size 280
		.amdhsa_user_sgpr_count 6
		.amdhsa_user_sgpr_private_segment_buffer 1
		.amdhsa_user_sgpr_dispatch_ptr 0
		.amdhsa_user_sgpr_queue_ptr 0
		.amdhsa_user_sgpr_kernarg_segment_ptr 1
		.amdhsa_user_sgpr_dispatch_id 0
		.amdhsa_user_sgpr_flat_scratch_init 0
		.amdhsa_user_sgpr_private_segment_size 0
		.amdhsa_uses_dynamic_stack 0
		.amdhsa_system_sgpr_private_segment_wavefront_offset 0
		.amdhsa_system_sgpr_workgroup_id_x 1
		.amdhsa_system_sgpr_workgroup_id_y 1
		.amdhsa_system_sgpr_workgroup_id_z 0
		.amdhsa_system_sgpr_workgroup_info 0
		.amdhsa_system_vgpr_workitem_id 1
		.amdhsa_next_free_vgpr 12
		.amdhsa_next_free_sgpr 12
		.amdhsa_reserve_vcc 1
		.amdhsa_reserve_flat_scratch 0
		.amdhsa_float_round_mode_32 0
		.amdhsa_float_round_mode_16_64 0
		.amdhsa_float_denorm_mode_32 3
		.amdhsa_float_denorm_mode_16_64 3
		.amdhsa_dx10_clamp 1
		.amdhsa_ieee_mode 1
		.amdhsa_fp16_overflow 0
		.amdhsa_exception_fp_ieee_invalid_op 0
		.amdhsa_exception_fp_denorm_src 0
		.amdhsa_exception_fp_ieee_div_zero 0
		.amdhsa_exception_fp_ieee_overflow 0
		.amdhsa_exception_fp_ieee_underflow 0
		.amdhsa_exception_fp_ieee_inexact 0
		.amdhsa_exception_int_div_zero 0
	.end_amdhsa_kernel
	.section	.text._Z14transposeNaiveIiEvPT_PKS0_m,"axG",@progbits,_Z14transposeNaiveIiEvPT_PKS0_m,comdat
.Lfunc_end0:
	.size	_Z14transposeNaiveIiEvPT_PKS0_m, .Lfunc_end0-_Z14transposeNaiveIiEvPT_PKS0_m
                                        ; -- End function
	.set _Z14transposeNaiveIiEvPT_PKS0_m.num_vgpr, 12
	.set _Z14transposeNaiveIiEvPT_PKS0_m.num_agpr, 0
	.set _Z14transposeNaiveIiEvPT_PKS0_m.numbered_sgpr, 12
	.set _Z14transposeNaiveIiEvPT_PKS0_m.num_named_barrier, 0
	.set _Z14transposeNaiveIiEvPT_PKS0_m.private_seg_size, 0
	.set _Z14transposeNaiveIiEvPT_PKS0_m.uses_vcc, 1
	.set _Z14transposeNaiveIiEvPT_PKS0_m.uses_flat_scratch, 0
	.set _Z14transposeNaiveIiEvPT_PKS0_m.has_dyn_sized_stack, 0
	.set _Z14transposeNaiveIiEvPT_PKS0_m.has_recursion, 0
	.set _Z14transposeNaiveIiEvPT_PKS0_m.has_indirect_call, 0
	.section	.AMDGPU.csdata,"",@progbits
; Kernel info:
; codeLenInByte = 312
; TotalNumSgprs: 16
; NumVgprs: 12
; ScratchSize: 0
; MemoryBound: 0
; FloatMode: 240
; IeeeMode: 1
; LDSByteSize: 0 bytes/workgroup (compile time only)
; SGPRBlocks: 1
; VGPRBlocks: 2
; NumSGPRsForWavesPerEU: 16
; NumVGPRsForWavesPerEU: 12
; Occupancy: 10
; WaveLimiterHint : 0
; COMPUTE_PGM_RSRC2:SCRATCH_EN: 0
; COMPUTE_PGM_RSRC2:USER_SGPR: 6
; COMPUTE_PGM_RSRC2:TRAP_HANDLER: 0
; COMPUTE_PGM_RSRC2:TGID_X_EN: 1
; COMPUTE_PGM_RSRC2:TGID_Y_EN: 1
; COMPUTE_PGM_RSRC2:TGID_Z_EN: 0
; COMPUTE_PGM_RSRC2:TIDIG_COMP_CNT: 1
	.section	.text._Z27transposeLdsNoBankConflictsIiEvPT_PKS0_m,"axG",@progbits,_Z27transposeLdsNoBankConflictsIiEvPT_PKS0_m,comdat
	.protected	_Z27transposeLdsNoBankConflictsIiEvPT_PKS0_m ; -- Begin function _Z27transposeLdsNoBankConflictsIiEvPT_PKS0_m
	.globl	_Z27transposeLdsNoBankConflictsIiEvPT_PKS0_m
	.p2align	8
	.type	_Z27transposeLdsNoBankConflictsIiEvPT_PKS0_m,@function
_Z27transposeLdsNoBankConflictsIiEvPT_PKS0_m: ; @_Z27transposeLdsNoBankConflictsIiEvPT_PKS0_m
; %bb.0:
	s_load_dwordx2 s[8:9], s[4:5], 0x10
	s_lshl_b32 s7, s7, 6
	v_add_u32_e32 v4, s7, v1
	s_lshl_b32 s10, s6, 6
	v_mov_b32_e32 v5, 0
	s_waitcnt lgkmcnt(0)
	v_mad_u64_u32 v[2:3], s[0:1], s8, v4, 0
	s_load_dwordx4 s[0:3], s[4:5], 0x0
	s_load_dword s11, s[4:5], 0x24
	v_mad_u64_u32 v[3:4], s[4:5], s9, v4, v[3:4]
	v_add_u32_e32 v4, s10, v0
	s_waitcnt lgkmcnt(0)
	v_mov_b32_e32 v6, s3
	v_lshlrev_b64 v[2:3], 2, v[2:3]
	s_lshr_b32 s6, s11, 16
	v_add_co_u32_e32 v7, vcc, s2, v2
	v_addc_co_u32_e32 v6, vcc, v6, v3, vcc
	v_lshlrev_b64 v[2:3], 2, v[4:5]
	v_lshlrev_b32_e32 v4, 2, v0
	s_movk_i32 s2, 0x104
	v_mad_u32_u24 v4, v1, s2, v4
	s_mul_i32 s2, s9, s6
	s_mul_hi_u32 s3, s8, s6
	s_add_i32 s3, s3, s2
	s_mul_i32 s2, s8, s6
	v_add_co_u32_e32 v2, vcc, v7, v2
	s_lshl_b64 s[2:3], s[2:3], 2
	v_addc_co_u32_e32 v3, vcc, v6, v3, vcc
	s_mul_i32 s11, s6, 0x104
	s_mov_b64 s[4:5], 0
	v_mov_b32_e32 v5, s3
.LBB1_1:                                ; =>This Inner Loop Header: Depth=1
	global_load_dword v6, v[2:3], off
	s_add_u32 s4, s4, s6
	s_addc_u32 s5, s5, 0
	v_add_co_u32_e32 v2, vcc, s2, v2
	v_cmp_gt_u64_e64 s[12:13], s[4:5], 63
	v_addc_co_u32_e32 v3, vcc, v3, v5, vcc
	s_and_b64 vcc, exec, s[12:13]
	s_waitcnt vmcnt(0)
	ds_write_b32 v4, v6
	v_add_u32_e32 v4, s11, v4
	s_cbranch_vccz .LBB1_1
; %bb.2:
	v_add_u32_e32 v6, s10, v1
	v_mad_u64_u32 v[3:4], s[4:5], s8, v6, 0
	v_lshlrev_b32_e32 v1, 2, v1
	v_add_u32_e32 v5, s7, v0
	v_mov_b32_e32 v2, v4
	v_mad_u64_u32 v[7:8], s[4:5], s9, v6, v[2:3]
	s_movk_i32 s4, 0x104
	v_mad_u32_u24 v2, v0, s4, v1
	v_mov_b32_e32 v4, v7
	v_lshlrev_b64 v[0:1], 2, v[3:4]
	v_mov_b32_e32 v6, 0
	v_mov_b32_e32 v3, s1
	v_add_co_u32_e32 v4, vcc, s0, v0
	v_addc_co_u32_e32 v3, vcc, v3, v1, vcc
	v_lshlrev_b64 v[0:1], 2, v[5:6]
	s_lshl_b32 s7, s6, 2
	v_add_co_u32_e32 v0, vcc, v4, v0
	v_addc_co_u32_e32 v1, vcc, v3, v1, vcc
	s_mov_b64 s[4:5], 0
	v_mov_b32_e32 v3, s3
	s_waitcnt lgkmcnt(0)
	s_barrier
.LBB1_3:                                ; =>This Inner Loop Header: Depth=1
	ds_read_b32 v4, v2
	s_add_u32 s4, s4, s6
	s_addc_u32 s5, s5, 0
	v_cmp_gt_u64_e64 s[0:1], s[4:5], 63
	v_add_u32_e32 v2, s7, v2
	s_and_b64 vcc, exec, s[0:1]
	s_waitcnt lgkmcnt(0)
	global_store_dword v[0:1], v4, off
	v_add_co_u32_e64 v0, s[0:1], s2, v0
	v_addc_co_u32_e64 v1, s[0:1], v1, v3, s[0:1]
	s_cbranch_vccz .LBB1_3
; %bb.4:
	s_endpgm
	.section	.rodata,"a",@progbits
	.p2align	6, 0x0
	.amdhsa_kernel _Z27transposeLdsNoBankConflictsIiEvPT_PKS0_m
		.amdhsa_group_segment_fixed_size 16640
		.amdhsa_private_segment_fixed_size 0
		.amdhsa_kernarg_size 280
		.amdhsa_user_sgpr_count 6
		.amdhsa_user_sgpr_private_segment_buffer 1
		.amdhsa_user_sgpr_dispatch_ptr 0
		.amdhsa_user_sgpr_queue_ptr 0
		.amdhsa_user_sgpr_kernarg_segment_ptr 1
		.amdhsa_user_sgpr_dispatch_id 0
		.amdhsa_user_sgpr_flat_scratch_init 0
		.amdhsa_user_sgpr_private_segment_size 0
		.amdhsa_uses_dynamic_stack 0
		.amdhsa_system_sgpr_private_segment_wavefront_offset 0
		.amdhsa_system_sgpr_workgroup_id_x 1
		.amdhsa_system_sgpr_workgroup_id_y 1
		.amdhsa_system_sgpr_workgroup_id_z 0
		.amdhsa_system_sgpr_workgroup_info 0
		.amdhsa_system_vgpr_workitem_id 1
		.amdhsa_next_free_vgpr 29
		.amdhsa_next_free_sgpr 61
		.amdhsa_reserve_vcc 1
		.amdhsa_reserve_flat_scratch 0
		.amdhsa_float_round_mode_32 0
		.amdhsa_float_round_mode_16_64 0
		.amdhsa_float_denorm_mode_32 3
		.amdhsa_float_denorm_mode_16_64 3
		.amdhsa_dx10_clamp 1
		.amdhsa_ieee_mode 1
		.amdhsa_fp16_overflow 0
		.amdhsa_exception_fp_ieee_invalid_op 0
		.amdhsa_exception_fp_denorm_src 0
		.amdhsa_exception_fp_ieee_div_zero 0
		.amdhsa_exception_fp_ieee_overflow 0
		.amdhsa_exception_fp_ieee_underflow 0
		.amdhsa_exception_fp_ieee_inexact 0
		.amdhsa_exception_int_div_zero 0
	.end_amdhsa_kernel
	.section	.text._Z27transposeLdsNoBankConflictsIiEvPT_PKS0_m,"axG",@progbits,_Z27transposeLdsNoBankConflictsIiEvPT_PKS0_m,comdat
.Lfunc_end1:
	.size	_Z27transposeLdsNoBankConflictsIiEvPT_PKS0_m, .Lfunc_end1-_Z27transposeLdsNoBankConflictsIiEvPT_PKS0_m
                                        ; -- End function
	.set _Z27transposeLdsNoBankConflictsIiEvPT_PKS0_m.num_vgpr, 9
	.set _Z27transposeLdsNoBankConflictsIiEvPT_PKS0_m.num_agpr, 0
	.set _Z27transposeLdsNoBankConflictsIiEvPT_PKS0_m.numbered_sgpr, 14
	.set _Z27transposeLdsNoBankConflictsIiEvPT_PKS0_m.num_named_barrier, 0
	.set _Z27transposeLdsNoBankConflictsIiEvPT_PKS0_m.private_seg_size, 0
	.set _Z27transposeLdsNoBankConflictsIiEvPT_PKS0_m.uses_vcc, 1
	.set _Z27transposeLdsNoBankConflictsIiEvPT_PKS0_m.uses_flat_scratch, 0
	.set _Z27transposeLdsNoBankConflictsIiEvPT_PKS0_m.has_dyn_sized_stack, 0
	.set _Z27transposeLdsNoBankConflictsIiEvPT_PKS0_m.has_recursion, 0
	.set _Z27transposeLdsNoBankConflictsIiEvPT_PKS0_m.has_indirect_call, 0
	.section	.AMDGPU.csdata,"",@progbits
; Kernel info:
; codeLenInByte = 392
; TotalNumSgprs: 18
; NumVgprs: 9
; ScratchSize: 0
; MemoryBound: 0
; FloatMode: 240
; IeeeMode: 1
; LDSByteSize: 16640 bytes/workgroup (compile time only)
; SGPRBlocks: 8
; VGPRBlocks: 7
; NumSGPRsForWavesPerEU: 65
; NumVGPRsForWavesPerEU: 29
; Occupancy: 8
; WaveLimiterHint : 0
; COMPUTE_PGM_RSRC2:SCRATCH_EN: 0
; COMPUTE_PGM_RSRC2:USER_SGPR: 6
; COMPUTE_PGM_RSRC2:TRAP_HANDLER: 0
; COMPUTE_PGM_RSRC2:TGID_X_EN: 1
; COMPUTE_PGM_RSRC2:TGID_Y_EN: 1
; COMPUTE_PGM_RSRC2:TGID_Z_EN: 0
; COMPUTE_PGM_RSRC2:TIDIG_COMP_CNT: 1
	.section	.text._Z23transposeLdsSwapInplaceIiEvPT_PKS0_m,"axG",@progbits,_Z23transposeLdsSwapInplaceIiEvPT_PKS0_m,comdat
	.protected	_Z23transposeLdsSwapInplaceIiEvPT_PKS0_m ; -- Begin function _Z23transposeLdsSwapInplaceIiEvPT_PKS0_m
	.globl	_Z23transposeLdsSwapInplaceIiEvPT_PKS0_m
	.p2align	8
	.type	_Z23transposeLdsSwapInplaceIiEvPT_PKS0_m,@function
_Z23transposeLdsSwapInplaceIiEvPT_PKS0_m: ; @_Z23transposeLdsSwapInplaceIiEvPT_PKS0_m
; %bb.0:
	s_load_dwordx4 s[8:11], s[4:5], 0x0
	s_load_dwordx2 s[2:3], s[4:5], 0x10
	v_mov_b32_e32 v3, v0
	s_lshl_b32 s6, s6, 6
	v_mov_b32_e32 v2, 0
	v_cmp_gt_u32_e32 vcc, 64, v1
	v_lshlrev_b32_e32 v0, 2, v3
	s_and_saveexec_b64 s[12:13], vcc
	s_cbranch_execz .LBB2_3
; %bb.1:
	s_lshl_b32 s0, s7, 6
	v_add_co_u32_e64 v6, s[0:1], s0, v1
	v_addc_co_u32_e64 v7, s[0:1], 0, 0, s[0:1]
	s_waitcnt lgkmcnt(0)
	v_mul_lo_u32 v9, s3, v6
	v_mul_lo_u32 v10, s2, v7
	v_mad_u64_u32 v[6:7], s[0:1], s2, v6, 0
	v_add_u32_e32 v4, s6, v3
	v_mov_b32_e32 v5, v2
	v_add3_u32 v7, v7, v10, v9
	s_load_dword s14, s[4:5], 0x24
	v_lshlrev_b64 v[6:7], 2, v[6:7]
	v_lshlrev_b64 v[4:5], 2, v[4:5]
	v_lshl_add_u32 v8, v1, 8, v0
	v_add_co_u32_e64 v4, s[0:1], v6, v4
	v_addc_co_u32_e64 v5, s[0:1], v7, v5, s[0:1]
	v_mov_b32_e32 v6, s11
	v_add_co_u32_e64 v4, s[0:1], s10, v4
	s_waitcnt lgkmcnt(0)
	s_lshr_b32 s16, s14, 16
	v_addc_co_u32_e64 v5, s[0:1], v6, v5, s[0:1]
	s_mul_i32 s0, s3, s16
	s_mul_hi_u32 s1, s2, s16
	s_add_i32 s1, s1, s0
	s_mul_i32 s0, s2, s16
	s_lshl_b64 s[10:11], s[0:1], 2
	v_mov_b32_e32 v7, v2
	s_lshl_b32 s17, s16, 8
	s_mov_b64 s[14:15], 0
	v_mov_b32_e32 v9, s11
	v_mov_b32_e32 v6, v1
.LBB2_2:                                ; =>This Inner Loop Header: Depth=1
	global_load_dword v10, v[4:5], off
	v_add_co_u32_e64 v6, s[0:1], s16, v6
	v_addc_co_u32_e64 v7, s[0:1], 0, v7, s[0:1]
	v_add_co_u32_e64 v4, s[0:1], s10, v4
	v_addc_co_u32_e64 v5, s[0:1], v5, v9, s[0:1]
	v_cmp_lt_u64_e64 s[0:1], 63, v[6:7]
	s_or_b64 s[14:15], s[0:1], s[14:15]
	s_waitcnt vmcnt(0)
	ds_write_b32 v8, v10
	v_add_u32_e32 v8, s17, v8
	s_andn2_b64 exec, exec, s[14:15]
	s_cbranch_execnz .LBB2_2
.LBB2_3:
	s_or_b64 exec, exec, s[12:13]
	s_waitcnt lgkmcnt(0)
	s_barrier
	s_and_saveexec_b64 s[10:11], vcc
	s_cbranch_execz .LBB2_8
; %bb.4:
	s_load_dword s0, s[4:5], 0x24
	v_mul_u32_u24_e32 v5, 0xfc, v3
	v_lshlrev_b32_e32 v6, 2, v1
	v_add3_u32 v8, v5, v0, v6
	v_mov_b32_e32 v6, v2
	s_waitcnt lgkmcnt(0)
	s_lshr_b32 s16, s0, 16
	v_mov_b32_e32 v4, 0
	v_lshl_add_u32 v7, v1, 8, v0
	s_lshl_b32 s17, s16, 8
	s_lshl_b32 s18, s16, 2
	s_mov_b64 s[12:13], 0
	v_mov_b32_e32 v5, v1
	s_branch .LBB2_6
.LBB2_5:                                ;   in Loop: Header=BB2_6 Depth=1
	s_or_b64 exec, exec, s[14:15]
	v_add_co_u32_e64 v5, s[0:1], s16, v5
	v_addc_co_u32_e64 v6, s[0:1], 0, v6, s[0:1]
	v_cmp_lt_u64_e64 s[0:1], 63, v[5:6]
	v_add_u32_e32 v7, s17, v7
	s_or_b64 s[12:13], s[0:1], s[12:13]
	v_add_u32_e32 v8, s18, v8
	s_andn2_b64 exec, exec, s[12:13]
	s_cbranch_execz .LBB2_8
.LBB2_6:                                ; =>This Inner Loop Header: Depth=1
	v_cmp_lt_u64_e64 s[0:1], v[5:6], v[3:4]
	s_and_saveexec_b64 s[14:15], s[0:1]
	s_cbranch_execz .LBB2_5
; %bb.7:                                ;   in Loop: Header=BB2_6 Depth=1
	ds_read_b32 v9, v8
	ds_read_b32 v10, v7
	s_waitcnt lgkmcnt(1)
	ds_write_b32 v7, v9
	s_waitcnt lgkmcnt(1)
	ds_write_b32 v8, v10
	s_branch .LBB2_5
.LBB2_8:
	s_or_b64 exec, exec, s[10:11]
	s_waitcnt lgkmcnt(0)
	s_barrier
	s_and_saveexec_b64 s[0:1], vcc
	s_cbranch_execz .LBB2_11
; %bb.9:
	v_add_co_u32_e32 v5, vcc, s6, v1
	v_addc_co_u32_e64 v6, s[0:1], 0, 0, vcc
	v_mul_lo_u32 v7, s3, v5
	v_mul_lo_u32 v8, s2, v6
	v_mad_u64_u32 v[5:6], s[0:1], s2, v5, 0
	s_load_dword s4, s[4:5], 0x24
	v_lshl_add_u32 v3, s7, 6, v3
	v_mov_b32_e32 v4, 0
	v_add3_u32 v6, v6, v8, v7
	v_lshlrev_b64 v[5:6], 2, v[5:6]
	v_lshlrev_b64 v[3:4], 2, v[3:4]
	s_waitcnt lgkmcnt(0)
	s_lshr_b32 s4, s4, 16
	v_add_co_u32_e32 v3, vcc, v5, v3
	s_mul_i32 s0, s3, s4
	s_mul_hi_u32 s1, s2, s4
	v_addc_co_u32_e32 v4, vcc, v6, v4, vcc
	s_add_i32 s1, s1, s0
	s_mul_i32 s0, s2, s4
	v_mov_b32_e32 v5, s9
	v_add_co_u32_e32 v3, vcc, s8, v3
	s_lshl_b64 s[0:1], s[0:1], 2
	v_lshl_add_u32 v0, v1, 8, v0
	s_lshl_b32 s5, s4, 8
	v_addc_co_u32_e32 v4, vcc, v5, v4, vcc
	s_mov_b64 s[2:3], 0
	v_mov_b32_e32 v5, s1
.LBB2_10:                               ; =>This Inner Loop Header: Depth=1
	ds_read_b32 v6, v0
	v_add_co_u32_e32 v1, vcc, s4, v1
	v_addc_co_u32_e32 v2, vcc, 0, v2, vcc
	v_cmp_lt_u64_e32 vcc, 63, v[1:2]
	s_waitcnt lgkmcnt(0)
	global_store_dword v[3:4], v6, off
	s_or_b64 s[2:3], vcc, s[2:3]
	v_add_co_u32_e32 v3, vcc, s0, v3
	v_add_u32_e32 v0, s5, v0
	v_addc_co_u32_e32 v4, vcc, v4, v5, vcc
	s_andn2_b64 exec, exec, s[2:3]
	s_cbranch_execnz .LBB2_10
.LBB2_11:
	s_endpgm
	.section	.rodata,"a",@progbits
	.p2align	6, 0x0
	.amdhsa_kernel _Z23transposeLdsSwapInplaceIiEvPT_PKS0_m
		.amdhsa_group_segment_fixed_size 16384
		.amdhsa_private_segment_fixed_size 0
		.amdhsa_kernarg_size 280
		.amdhsa_user_sgpr_count 6
		.amdhsa_user_sgpr_private_segment_buffer 1
		.amdhsa_user_sgpr_dispatch_ptr 0
		.amdhsa_user_sgpr_queue_ptr 0
		.amdhsa_user_sgpr_kernarg_segment_ptr 1
		.amdhsa_user_sgpr_dispatch_id 0
		.amdhsa_user_sgpr_flat_scratch_init 0
		.amdhsa_user_sgpr_private_segment_size 0
		.amdhsa_uses_dynamic_stack 0
		.amdhsa_system_sgpr_private_segment_wavefront_offset 0
		.amdhsa_system_sgpr_workgroup_id_x 1
		.amdhsa_system_sgpr_workgroup_id_y 1
		.amdhsa_system_sgpr_workgroup_id_z 0
		.amdhsa_system_sgpr_workgroup_info 0
		.amdhsa_system_vgpr_workitem_id 1
		.amdhsa_next_free_vgpr 29
		.amdhsa_next_free_sgpr 61
		.amdhsa_reserve_vcc 1
		.amdhsa_reserve_flat_scratch 0
		.amdhsa_float_round_mode_32 0
		.amdhsa_float_round_mode_16_64 0
		.amdhsa_float_denorm_mode_32 3
		.amdhsa_float_denorm_mode_16_64 3
		.amdhsa_dx10_clamp 1
		.amdhsa_ieee_mode 1
		.amdhsa_fp16_overflow 0
		.amdhsa_exception_fp_ieee_invalid_op 0
		.amdhsa_exception_fp_denorm_src 0
		.amdhsa_exception_fp_ieee_div_zero 0
		.amdhsa_exception_fp_ieee_overflow 0
		.amdhsa_exception_fp_ieee_underflow 0
		.amdhsa_exception_fp_ieee_inexact 0
		.amdhsa_exception_int_div_zero 0
	.end_amdhsa_kernel
	.section	.text._Z23transposeLdsSwapInplaceIiEvPT_PKS0_m,"axG",@progbits,_Z23transposeLdsSwapInplaceIiEvPT_PKS0_m,comdat
.Lfunc_end2:
	.size	_Z23transposeLdsSwapInplaceIiEvPT_PKS0_m, .Lfunc_end2-_Z23transposeLdsSwapInplaceIiEvPT_PKS0_m
                                        ; -- End function
	.set _Z23transposeLdsSwapInplaceIiEvPT_PKS0_m.num_vgpr, 11
	.set _Z23transposeLdsSwapInplaceIiEvPT_PKS0_m.num_agpr, 0
	.set _Z23transposeLdsSwapInplaceIiEvPT_PKS0_m.numbered_sgpr, 19
	.set _Z23transposeLdsSwapInplaceIiEvPT_PKS0_m.num_named_barrier, 0
	.set _Z23transposeLdsSwapInplaceIiEvPT_PKS0_m.private_seg_size, 0
	.set _Z23transposeLdsSwapInplaceIiEvPT_PKS0_m.uses_vcc, 1
	.set _Z23transposeLdsSwapInplaceIiEvPT_PKS0_m.uses_flat_scratch, 0
	.set _Z23transposeLdsSwapInplaceIiEvPT_PKS0_m.has_dyn_sized_stack, 0
	.set _Z23transposeLdsSwapInplaceIiEvPT_PKS0_m.has_recursion, 0
	.set _Z23transposeLdsSwapInplaceIiEvPT_PKS0_m.has_indirect_call, 0
	.section	.AMDGPU.csdata,"",@progbits
; Kernel info:
; codeLenInByte = 728
; TotalNumSgprs: 23
; NumVgprs: 11
; ScratchSize: 0
; MemoryBound: 0
; FloatMode: 240
; IeeeMode: 1
; LDSByteSize: 16384 bytes/workgroup (compile time only)
; SGPRBlocks: 8
; VGPRBlocks: 7
; NumSGPRsForWavesPerEU: 65
; NumVGPRsForWavesPerEU: 29
; Occupancy: 8
; WaveLimiterHint : 0
; COMPUTE_PGM_RSRC2:SCRATCH_EN: 0
; COMPUTE_PGM_RSRC2:USER_SGPR: 6
; COMPUTE_PGM_RSRC2:TRAP_HANDLER: 0
; COMPUTE_PGM_RSRC2:TGID_X_EN: 1
; COMPUTE_PGM_RSRC2:TGID_Y_EN: 1
; COMPUTE_PGM_RSRC2:TGID_Z_EN: 0
; COMPUTE_PGM_RSRC2:TIDIG_COMP_CNT: 1
	.section	.text._Z14transposeNaiveIfEvPT_PKS0_m,"axG",@progbits,_Z14transposeNaiveIfEvPT_PKS0_m,comdat
	.protected	_Z14transposeNaiveIfEvPT_PKS0_m ; -- Begin function _Z14transposeNaiveIfEvPT_PKS0_m
	.globl	_Z14transposeNaiveIfEvPT_PKS0_m
	.p2align	8
	.type	_Z14transposeNaiveIfEvPT_PKS0_m,@function
_Z14transposeNaiveIfEvPT_PKS0_m:        ; @_Z14transposeNaiveIfEvPT_PKS0_m
; %bb.0:
	v_cmp_gt_u32_e32 vcc, 64, v1
	s_and_saveexec_b64 s[0:1], vcc
	s_cbranch_execz .LBB3_3
; %bb.1:
	s_load_dwordx2 s[8:9], s[4:5], 0x10
	s_load_dwordx4 s[0:3], s[4:5], 0x0
	v_lshl_add_u32 v5, s6, 6, v0
	s_load_dword s6, s[4:5], 0x24
	v_mov_b32_e32 v6, 0
	s_waitcnt lgkmcnt(0)
	v_mad_u64_u32 v[3:4], s[10:11], s8, v5, 0
	s_mov_b32 s11, 0
	s_lshl_b32 s10, s7, 6
	v_mov_b32_e32 v0, v4
	v_mad_u64_u32 v[7:8], s[4:5], s9, v5, v[0:1]
	v_lshlrev_b32_e32 v0, 2, v1
	s_lshr_b32 s4, s6, 16
	v_mov_b32_e32 v4, v7
	v_lshlrev_b64 v[3:4], 2, v[3:4]
	s_lshl_b64 s[6:7], s[10:11], 2
	v_add_co_u32_e32 v0, vcc, v3, v0
	v_addc_co_u32_e32 v4, vcc, 0, v4, vcc
	s_add_u32 s5, s0, s6
	s_addc_u32 s0, s1, s7
	v_add_co_u32_e32 v3, vcc, s10, v1
	v_mov_b32_e32 v9, s0
	v_addc_co_u32_e64 v7, s[0:1], 0, 0, vcc
	v_mul_lo_u32 v10, s9, v3
	v_mul_lo_u32 v11, s8, v7
	v_mad_u64_u32 v[7:8], s[0:1], s8, v3, 0
	v_mov_b32_e32 v2, v6
	v_add_co_u32_e32 v3, vcc, s5, v0
	v_add3_u32 v8, v8, v11, v10
	v_lshlrev_b64 v[7:8], 2, v[7:8]
	v_lshlrev_b64 v[5:6], 2, v[5:6]
	v_addc_co_u32_e32 v4, vcc, v9, v4, vcc
	v_add_co_u32_e32 v0, vcc, v7, v5
	s_mul_i32 s0, s9, s4
	s_mul_hi_u32 s1, s8, s4
	v_addc_co_u32_e32 v6, vcc, v8, v6, vcc
	s_add_i32 s1, s1, s0
	s_mul_i32 s0, s8, s4
	v_mov_b32_e32 v7, s3
	v_add_co_u32_e32 v5, vcc, s2, v0
	s_lshl_b64 s[0:1], s[0:1], 2
	s_lshl_b32 s5, s4, 2
	v_addc_co_u32_e32 v6, vcc, v7, v6, vcc
	s_mov_b64 s[2:3], 0
	v_mov_b32_e32 v0, s1
.LBB3_2:                                ; =>This Inner Loop Header: Depth=1
	global_load_dword v7, v[5:6], off
	v_add_co_u32_e32 v1, vcc, s4, v1
	v_addc_co_u32_e32 v2, vcc, 0, v2, vcc
	v_add_co_u32_e32 v5, vcc, s0, v5
	v_addc_co_u32_e32 v6, vcc, v6, v0, vcc
	v_cmp_lt_u64_e32 vcc, 63, v[1:2]
	s_or_b64 s[2:3], vcc, s[2:3]
	s_waitcnt vmcnt(0)
	global_store_dword v[3:4], v7, off
	v_add_co_u32_e32 v3, vcc, s5, v3
	v_addc_co_u32_e32 v4, vcc, 0, v4, vcc
	s_andn2_b64 exec, exec, s[2:3]
	s_cbranch_execnz .LBB3_2
.LBB3_3:
	s_endpgm
	.section	.rodata,"a",@progbits
	.p2align	6, 0x0
	.amdhsa_kernel _Z14transposeNaiveIfEvPT_PKS0_m
		.amdhsa_group_segment_fixed_size 0
		.amdhsa_private_segment_fixed_size 0
		.amdhsa_kernarg_size 280
		.amdhsa_user_sgpr_count 6
		.amdhsa_user_sgpr_private_segment_buffer 1
		.amdhsa_user_sgpr_dispatch_ptr 0
		.amdhsa_user_sgpr_queue_ptr 0
		.amdhsa_user_sgpr_kernarg_segment_ptr 1
		.amdhsa_user_sgpr_dispatch_id 0
		.amdhsa_user_sgpr_flat_scratch_init 0
		.amdhsa_user_sgpr_private_segment_size 0
		.amdhsa_uses_dynamic_stack 0
		.amdhsa_system_sgpr_private_segment_wavefront_offset 0
		.amdhsa_system_sgpr_workgroup_id_x 1
		.amdhsa_system_sgpr_workgroup_id_y 1
		.amdhsa_system_sgpr_workgroup_id_z 0
		.amdhsa_system_sgpr_workgroup_info 0
		.amdhsa_system_vgpr_workitem_id 1
		.amdhsa_next_free_vgpr 12
		.amdhsa_next_free_sgpr 12
		.amdhsa_reserve_vcc 1
		.amdhsa_reserve_flat_scratch 0
		.amdhsa_float_round_mode_32 0
		.amdhsa_float_round_mode_16_64 0
		.amdhsa_float_denorm_mode_32 3
		.amdhsa_float_denorm_mode_16_64 3
		.amdhsa_dx10_clamp 1
		.amdhsa_ieee_mode 1
		.amdhsa_fp16_overflow 0
		.amdhsa_exception_fp_ieee_invalid_op 0
		.amdhsa_exception_fp_denorm_src 0
		.amdhsa_exception_fp_ieee_div_zero 0
		.amdhsa_exception_fp_ieee_overflow 0
		.amdhsa_exception_fp_ieee_underflow 0
		.amdhsa_exception_fp_ieee_inexact 0
		.amdhsa_exception_int_div_zero 0
	.end_amdhsa_kernel
	.section	.text._Z14transposeNaiveIfEvPT_PKS0_m,"axG",@progbits,_Z14transposeNaiveIfEvPT_PKS0_m,comdat
.Lfunc_end3:
	.size	_Z14transposeNaiveIfEvPT_PKS0_m, .Lfunc_end3-_Z14transposeNaiveIfEvPT_PKS0_m
                                        ; -- End function
	.set _Z14transposeNaiveIfEvPT_PKS0_m.num_vgpr, 12
	.set _Z14transposeNaiveIfEvPT_PKS0_m.num_agpr, 0
	.set _Z14transposeNaiveIfEvPT_PKS0_m.numbered_sgpr, 12
	.set _Z14transposeNaiveIfEvPT_PKS0_m.num_named_barrier, 0
	.set _Z14transposeNaiveIfEvPT_PKS0_m.private_seg_size, 0
	.set _Z14transposeNaiveIfEvPT_PKS0_m.uses_vcc, 1
	.set _Z14transposeNaiveIfEvPT_PKS0_m.uses_flat_scratch, 0
	.set _Z14transposeNaiveIfEvPT_PKS0_m.has_dyn_sized_stack, 0
	.set _Z14transposeNaiveIfEvPT_PKS0_m.has_recursion, 0
	.set _Z14transposeNaiveIfEvPT_PKS0_m.has_indirect_call, 0
	.section	.AMDGPU.csdata,"",@progbits
; Kernel info:
; codeLenInByte = 312
; TotalNumSgprs: 16
; NumVgprs: 12
; ScratchSize: 0
; MemoryBound: 0
; FloatMode: 240
; IeeeMode: 1
; LDSByteSize: 0 bytes/workgroup (compile time only)
; SGPRBlocks: 1
; VGPRBlocks: 2
; NumSGPRsForWavesPerEU: 16
; NumVGPRsForWavesPerEU: 12
; Occupancy: 10
; WaveLimiterHint : 0
; COMPUTE_PGM_RSRC2:SCRATCH_EN: 0
; COMPUTE_PGM_RSRC2:USER_SGPR: 6
; COMPUTE_PGM_RSRC2:TRAP_HANDLER: 0
; COMPUTE_PGM_RSRC2:TGID_X_EN: 1
; COMPUTE_PGM_RSRC2:TGID_Y_EN: 1
; COMPUTE_PGM_RSRC2:TGID_Z_EN: 0
; COMPUTE_PGM_RSRC2:TIDIG_COMP_CNT: 1
	.section	.text._Z27transposeLdsNoBankConflictsIfEvPT_PKS0_m,"axG",@progbits,_Z27transposeLdsNoBankConflictsIfEvPT_PKS0_m,comdat
	.protected	_Z27transposeLdsNoBankConflictsIfEvPT_PKS0_m ; -- Begin function _Z27transposeLdsNoBankConflictsIfEvPT_PKS0_m
	.globl	_Z27transposeLdsNoBankConflictsIfEvPT_PKS0_m
	.p2align	8
	.type	_Z27transposeLdsNoBankConflictsIfEvPT_PKS0_m,@function
_Z27transposeLdsNoBankConflictsIfEvPT_PKS0_m: ; @_Z27transposeLdsNoBankConflictsIfEvPT_PKS0_m
; %bb.0:
	s_load_dwordx2 s[8:9], s[4:5], 0x10
	s_lshl_b32 s7, s7, 6
	v_add_u32_e32 v4, s7, v1
	s_lshl_b32 s10, s6, 6
	v_mov_b32_e32 v5, 0
	s_waitcnt lgkmcnt(0)
	v_mad_u64_u32 v[2:3], s[0:1], s8, v4, 0
	s_load_dwordx4 s[0:3], s[4:5], 0x0
	s_load_dword s11, s[4:5], 0x24
	v_mad_u64_u32 v[3:4], s[4:5], s9, v4, v[3:4]
	v_add_u32_e32 v4, s10, v0
	s_waitcnt lgkmcnt(0)
	v_mov_b32_e32 v6, s3
	v_lshlrev_b64 v[2:3], 2, v[2:3]
	s_lshr_b32 s6, s11, 16
	v_add_co_u32_e32 v7, vcc, s2, v2
	v_addc_co_u32_e32 v6, vcc, v6, v3, vcc
	v_lshlrev_b64 v[2:3], 2, v[4:5]
	v_lshlrev_b32_e32 v4, 2, v0
	s_movk_i32 s2, 0x104
	v_mad_u32_u24 v4, v1, s2, v4
	s_mul_i32 s2, s9, s6
	s_mul_hi_u32 s3, s8, s6
	s_add_i32 s3, s3, s2
	s_mul_i32 s2, s8, s6
	v_add_co_u32_e32 v2, vcc, v7, v2
	s_lshl_b64 s[2:3], s[2:3], 2
	v_addc_co_u32_e32 v3, vcc, v6, v3, vcc
	s_mul_i32 s11, s6, 0x104
	s_mov_b64 s[4:5], 0
	v_mov_b32_e32 v5, s3
.LBB4_1:                                ; =>This Inner Loop Header: Depth=1
	global_load_dword v6, v[2:3], off
	s_add_u32 s4, s4, s6
	s_addc_u32 s5, s5, 0
	v_add_co_u32_e32 v2, vcc, s2, v2
	v_cmp_gt_u64_e64 s[12:13], s[4:5], 63
	v_addc_co_u32_e32 v3, vcc, v3, v5, vcc
	s_and_b64 vcc, exec, s[12:13]
	s_waitcnt vmcnt(0)
	ds_write_b32 v4, v6
	v_add_u32_e32 v4, s11, v4
	s_cbranch_vccz .LBB4_1
; %bb.2:
	v_add_u32_e32 v6, s10, v1
	v_mad_u64_u32 v[3:4], s[4:5], s8, v6, 0
	v_lshlrev_b32_e32 v1, 2, v1
	v_add_u32_e32 v5, s7, v0
	v_mov_b32_e32 v2, v4
	v_mad_u64_u32 v[7:8], s[4:5], s9, v6, v[2:3]
	s_movk_i32 s4, 0x104
	v_mad_u32_u24 v2, v0, s4, v1
	v_mov_b32_e32 v4, v7
	v_lshlrev_b64 v[0:1], 2, v[3:4]
	v_mov_b32_e32 v6, 0
	v_mov_b32_e32 v3, s1
	v_add_co_u32_e32 v4, vcc, s0, v0
	v_addc_co_u32_e32 v3, vcc, v3, v1, vcc
	v_lshlrev_b64 v[0:1], 2, v[5:6]
	s_lshl_b32 s7, s6, 2
	v_add_co_u32_e32 v0, vcc, v4, v0
	v_addc_co_u32_e32 v1, vcc, v3, v1, vcc
	s_mov_b64 s[4:5], 0
	v_mov_b32_e32 v3, s3
	s_waitcnt lgkmcnt(0)
	s_barrier
.LBB4_3:                                ; =>This Inner Loop Header: Depth=1
	ds_read_b32 v4, v2
	s_add_u32 s4, s4, s6
	s_addc_u32 s5, s5, 0
	v_cmp_gt_u64_e64 s[0:1], s[4:5], 63
	v_add_u32_e32 v2, s7, v2
	s_and_b64 vcc, exec, s[0:1]
	s_waitcnt lgkmcnt(0)
	global_store_dword v[0:1], v4, off
	v_add_co_u32_e64 v0, s[0:1], s2, v0
	v_addc_co_u32_e64 v1, s[0:1], v1, v3, s[0:1]
	s_cbranch_vccz .LBB4_3
; %bb.4:
	s_endpgm
	.section	.rodata,"a",@progbits
	.p2align	6, 0x0
	.amdhsa_kernel _Z27transposeLdsNoBankConflictsIfEvPT_PKS0_m
		.amdhsa_group_segment_fixed_size 16640
		.amdhsa_private_segment_fixed_size 0
		.amdhsa_kernarg_size 280
		.amdhsa_user_sgpr_count 6
		.amdhsa_user_sgpr_private_segment_buffer 1
		.amdhsa_user_sgpr_dispatch_ptr 0
		.amdhsa_user_sgpr_queue_ptr 0
		.amdhsa_user_sgpr_kernarg_segment_ptr 1
		.amdhsa_user_sgpr_dispatch_id 0
		.amdhsa_user_sgpr_flat_scratch_init 0
		.amdhsa_user_sgpr_private_segment_size 0
		.amdhsa_uses_dynamic_stack 0
		.amdhsa_system_sgpr_private_segment_wavefront_offset 0
		.amdhsa_system_sgpr_workgroup_id_x 1
		.amdhsa_system_sgpr_workgroup_id_y 1
		.amdhsa_system_sgpr_workgroup_id_z 0
		.amdhsa_system_sgpr_workgroup_info 0
		.amdhsa_system_vgpr_workitem_id 1
		.amdhsa_next_free_vgpr 29
		.amdhsa_next_free_sgpr 61
		.amdhsa_reserve_vcc 1
		.amdhsa_reserve_flat_scratch 0
		.amdhsa_float_round_mode_32 0
		.amdhsa_float_round_mode_16_64 0
		.amdhsa_float_denorm_mode_32 3
		.amdhsa_float_denorm_mode_16_64 3
		.amdhsa_dx10_clamp 1
		.amdhsa_ieee_mode 1
		.amdhsa_fp16_overflow 0
		.amdhsa_exception_fp_ieee_invalid_op 0
		.amdhsa_exception_fp_denorm_src 0
		.amdhsa_exception_fp_ieee_div_zero 0
		.amdhsa_exception_fp_ieee_overflow 0
		.amdhsa_exception_fp_ieee_underflow 0
		.amdhsa_exception_fp_ieee_inexact 0
		.amdhsa_exception_int_div_zero 0
	.end_amdhsa_kernel
	.section	.text._Z27transposeLdsNoBankConflictsIfEvPT_PKS0_m,"axG",@progbits,_Z27transposeLdsNoBankConflictsIfEvPT_PKS0_m,comdat
.Lfunc_end4:
	.size	_Z27transposeLdsNoBankConflictsIfEvPT_PKS0_m, .Lfunc_end4-_Z27transposeLdsNoBankConflictsIfEvPT_PKS0_m
                                        ; -- End function
	.set _Z27transposeLdsNoBankConflictsIfEvPT_PKS0_m.num_vgpr, 9
	.set _Z27transposeLdsNoBankConflictsIfEvPT_PKS0_m.num_agpr, 0
	.set _Z27transposeLdsNoBankConflictsIfEvPT_PKS0_m.numbered_sgpr, 14
	.set _Z27transposeLdsNoBankConflictsIfEvPT_PKS0_m.num_named_barrier, 0
	.set _Z27transposeLdsNoBankConflictsIfEvPT_PKS0_m.private_seg_size, 0
	.set _Z27transposeLdsNoBankConflictsIfEvPT_PKS0_m.uses_vcc, 1
	.set _Z27transposeLdsNoBankConflictsIfEvPT_PKS0_m.uses_flat_scratch, 0
	.set _Z27transposeLdsNoBankConflictsIfEvPT_PKS0_m.has_dyn_sized_stack, 0
	.set _Z27transposeLdsNoBankConflictsIfEvPT_PKS0_m.has_recursion, 0
	.set _Z27transposeLdsNoBankConflictsIfEvPT_PKS0_m.has_indirect_call, 0
	.section	.AMDGPU.csdata,"",@progbits
; Kernel info:
; codeLenInByte = 392
; TotalNumSgprs: 18
; NumVgprs: 9
; ScratchSize: 0
; MemoryBound: 0
; FloatMode: 240
; IeeeMode: 1
; LDSByteSize: 16640 bytes/workgroup (compile time only)
; SGPRBlocks: 8
; VGPRBlocks: 7
; NumSGPRsForWavesPerEU: 65
; NumVGPRsForWavesPerEU: 29
; Occupancy: 8
; WaveLimiterHint : 0
; COMPUTE_PGM_RSRC2:SCRATCH_EN: 0
; COMPUTE_PGM_RSRC2:USER_SGPR: 6
; COMPUTE_PGM_RSRC2:TRAP_HANDLER: 0
; COMPUTE_PGM_RSRC2:TGID_X_EN: 1
; COMPUTE_PGM_RSRC2:TGID_Y_EN: 1
; COMPUTE_PGM_RSRC2:TGID_Z_EN: 0
; COMPUTE_PGM_RSRC2:TIDIG_COMP_CNT: 1
	.section	.text._Z23transposeLdsSwapInplaceIfEvPT_PKS0_m,"axG",@progbits,_Z23transposeLdsSwapInplaceIfEvPT_PKS0_m,comdat
	.protected	_Z23transposeLdsSwapInplaceIfEvPT_PKS0_m ; -- Begin function _Z23transposeLdsSwapInplaceIfEvPT_PKS0_m
	.globl	_Z23transposeLdsSwapInplaceIfEvPT_PKS0_m
	.p2align	8
	.type	_Z23transposeLdsSwapInplaceIfEvPT_PKS0_m,@function
_Z23transposeLdsSwapInplaceIfEvPT_PKS0_m: ; @_Z23transposeLdsSwapInplaceIfEvPT_PKS0_m
; %bb.0:
	s_load_dwordx4 s[8:11], s[4:5], 0x0
	s_load_dwordx2 s[2:3], s[4:5], 0x10
	v_mov_b32_e32 v3, v0
	s_lshl_b32 s6, s6, 6
	v_mov_b32_e32 v2, 0
	v_cmp_gt_u32_e32 vcc, 64, v1
	v_lshlrev_b32_e32 v0, 2, v3
	s_and_saveexec_b64 s[12:13], vcc
	s_cbranch_execz .LBB5_3
; %bb.1:
	s_lshl_b32 s0, s7, 6
	v_add_co_u32_e64 v6, s[0:1], s0, v1
	v_addc_co_u32_e64 v7, s[0:1], 0, 0, s[0:1]
	s_waitcnt lgkmcnt(0)
	v_mul_lo_u32 v9, s3, v6
	v_mul_lo_u32 v10, s2, v7
	v_mad_u64_u32 v[6:7], s[0:1], s2, v6, 0
	v_add_u32_e32 v4, s6, v3
	v_mov_b32_e32 v5, v2
	v_add3_u32 v7, v7, v10, v9
	s_load_dword s14, s[4:5], 0x24
	v_lshlrev_b64 v[6:7], 2, v[6:7]
	v_lshlrev_b64 v[4:5], 2, v[4:5]
	v_lshl_add_u32 v8, v1, 8, v0
	v_add_co_u32_e64 v4, s[0:1], v6, v4
	v_addc_co_u32_e64 v5, s[0:1], v7, v5, s[0:1]
	v_mov_b32_e32 v6, s11
	v_add_co_u32_e64 v4, s[0:1], s10, v4
	s_waitcnt lgkmcnt(0)
	s_lshr_b32 s16, s14, 16
	v_addc_co_u32_e64 v5, s[0:1], v6, v5, s[0:1]
	s_mul_i32 s0, s3, s16
	s_mul_hi_u32 s1, s2, s16
	s_add_i32 s1, s1, s0
	s_mul_i32 s0, s2, s16
	s_lshl_b64 s[10:11], s[0:1], 2
	v_mov_b32_e32 v7, v2
	s_lshl_b32 s17, s16, 8
	s_mov_b64 s[14:15], 0
	v_mov_b32_e32 v9, s11
	v_mov_b32_e32 v6, v1
.LBB5_2:                                ; =>This Inner Loop Header: Depth=1
	global_load_dword v10, v[4:5], off
	v_add_co_u32_e64 v6, s[0:1], s16, v6
	v_addc_co_u32_e64 v7, s[0:1], 0, v7, s[0:1]
	v_add_co_u32_e64 v4, s[0:1], s10, v4
	v_addc_co_u32_e64 v5, s[0:1], v5, v9, s[0:1]
	v_cmp_lt_u64_e64 s[0:1], 63, v[6:7]
	s_or_b64 s[14:15], s[0:1], s[14:15]
	s_waitcnt vmcnt(0)
	ds_write_b32 v8, v10
	v_add_u32_e32 v8, s17, v8
	s_andn2_b64 exec, exec, s[14:15]
	s_cbranch_execnz .LBB5_2
.LBB5_3:
	s_or_b64 exec, exec, s[12:13]
	s_waitcnt lgkmcnt(0)
	s_barrier
	s_and_saveexec_b64 s[10:11], vcc
	s_cbranch_execz .LBB5_8
; %bb.4:
	s_load_dword s0, s[4:5], 0x24
	v_mul_u32_u24_e32 v5, 0xfc, v3
	v_lshlrev_b32_e32 v6, 2, v1
	v_add3_u32 v8, v5, v0, v6
	v_mov_b32_e32 v6, v2
	s_waitcnt lgkmcnt(0)
	s_lshr_b32 s16, s0, 16
	v_mov_b32_e32 v4, 0
	v_lshl_add_u32 v7, v1, 8, v0
	s_lshl_b32 s17, s16, 8
	s_lshl_b32 s18, s16, 2
	s_mov_b64 s[12:13], 0
	v_mov_b32_e32 v5, v1
	s_branch .LBB5_6
.LBB5_5:                                ;   in Loop: Header=BB5_6 Depth=1
	s_or_b64 exec, exec, s[14:15]
	v_add_co_u32_e64 v5, s[0:1], s16, v5
	v_addc_co_u32_e64 v6, s[0:1], 0, v6, s[0:1]
	v_cmp_lt_u64_e64 s[0:1], 63, v[5:6]
	v_add_u32_e32 v7, s17, v7
	s_or_b64 s[12:13], s[0:1], s[12:13]
	v_add_u32_e32 v8, s18, v8
	s_andn2_b64 exec, exec, s[12:13]
	s_cbranch_execz .LBB5_8
.LBB5_6:                                ; =>This Inner Loop Header: Depth=1
	v_cmp_lt_u64_e64 s[0:1], v[5:6], v[3:4]
	s_and_saveexec_b64 s[14:15], s[0:1]
	s_cbranch_execz .LBB5_5
; %bb.7:                                ;   in Loop: Header=BB5_6 Depth=1
	ds_read_b32 v9, v8
	ds_read_b32 v10, v7
	s_waitcnt lgkmcnt(1)
	ds_write_b32 v7, v9
	s_waitcnt lgkmcnt(1)
	ds_write_b32 v8, v10
	s_branch .LBB5_5
.LBB5_8:
	s_or_b64 exec, exec, s[10:11]
	s_waitcnt lgkmcnt(0)
	s_barrier
	s_and_saveexec_b64 s[0:1], vcc
	s_cbranch_execz .LBB5_11
; %bb.9:
	v_add_co_u32_e32 v5, vcc, s6, v1
	v_addc_co_u32_e64 v6, s[0:1], 0, 0, vcc
	v_mul_lo_u32 v7, s3, v5
	v_mul_lo_u32 v8, s2, v6
	v_mad_u64_u32 v[5:6], s[0:1], s2, v5, 0
	s_load_dword s4, s[4:5], 0x24
	v_lshl_add_u32 v3, s7, 6, v3
	v_mov_b32_e32 v4, 0
	v_add3_u32 v6, v6, v8, v7
	v_lshlrev_b64 v[5:6], 2, v[5:6]
	v_lshlrev_b64 v[3:4], 2, v[3:4]
	s_waitcnt lgkmcnt(0)
	s_lshr_b32 s4, s4, 16
	v_add_co_u32_e32 v3, vcc, v5, v3
	s_mul_i32 s0, s3, s4
	s_mul_hi_u32 s1, s2, s4
	v_addc_co_u32_e32 v4, vcc, v6, v4, vcc
	s_add_i32 s1, s1, s0
	s_mul_i32 s0, s2, s4
	v_mov_b32_e32 v5, s9
	v_add_co_u32_e32 v3, vcc, s8, v3
	s_lshl_b64 s[0:1], s[0:1], 2
	v_lshl_add_u32 v0, v1, 8, v0
	s_lshl_b32 s5, s4, 8
	v_addc_co_u32_e32 v4, vcc, v5, v4, vcc
	s_mov_b64 s[2:3], 0
	v_mov_b32_e32 v5, s1
.LBB5_10:                               ; =>This Inner Loop Header: Depth=1
	ds_read_b32 v6, v0
	v_add_co_u32_e32 v1, vcc, s4, v1
	v_addc_co_u32_e32 v2, vcc, 0, v2, vcc
	v_cmp_lt_u64_e32 vcc, 63, v[1:2]
	s_waitcnt lgkmcnt(0)
	global_store_dword v[3:4], v6, off
	s_or_b64 s[2:3], vcc, s[2:3]
	v_add_co_u32_e32 v3, vcc, s0, v3
	v_add_u32_e32 v0, s5, v0
	v_addc_co_u32_e32 v4, vcc, v4, v5, vcc
	s_andn2_b64 exec, exec, s[2:3]
	s_cbranch_execnz .LBB5_10
.LBB5_11:
	s_endpgm
	.section	.rodata,"a",@progbits
	.p2align	6, 0x0
	.amdhsa_kernel _Z23transposeLdsSwapInplaceIfEvPT_PKS0_m
		.amdhsa_group_segment_fixed_size 16384
		.amdhsa_private_segment_fixed_size 0
		.amdhsa_kernarg_size 280
		.amdhsa_user_sgpr_count 6
		.amdhsa_user_sgpr_private_segment_buffer 1
		.amdhsa_user_sgpr_dispatch_ptr 0
		.amdhsa_user_sgpr_queue_ptr 0
		.amdhsa_user_sgpr_kernarg_segment_ptr 1
		.amdhsa_user_sgpr_dispatch_id 0
		.amdhsa_user_sgpr_flat_scratch_init 0
		.amdhsa_user_sgpr_private_segment_size 0
		.amdhsa_uses_dynamic_stack 0
		.amdhsa_system_sgpr_private_segment_wavefront_offset 0
		.amdhsa_system_sgpr_workgroup_id_x 1
		.amdhsa_system_sgpr_workgroup_id_y 1
		.amdhsa_system_sgpr_workgroup_id_z 0
		.amdhsa_system_sgpr_workgroup_info 0
		.amdhsa_system_vgpr_workitem_id 1
		.amdhsa_next_free_vgpr 29
		.amdhsa_next_free_sgpr 61
		.amdhsa_reserve_vcc 1
		.amdhsa_reserve_flat_scratch 0
		.amdhsa_float_round_mode_32 0
		.amdhsa_float_round_mode_16_64 0
		.amdhsa_float_denorm_mode_32 3
		.amdhsa_float_denorm_mode_16_64 3
		.amdhsa_dx10_clamp 1
		.amdhsa_ieee_mode 1
		.amdhsa_fp16_overflow 0
		.amdhsa_exception_fp_ieee_invalid_op 0
		.amdhsa_exception_fp_denorm_src 0
		.amdhsa_exception_fp_ieee_div_zero 0
		.amdhsa_exception_fp_ieee_overflow 0
		.amdhsa_exception_fp_ieee_underflow 0
		.amdhsa_exception_fp_ieee_inexact 0
		.amdhsa_exception_int_div_zero 0
	.end_amdhsa_kernel
	.section	.text._Z23transposeLdsSwapInplaceIfEvPT_PKS0_m,"axG",@progbits,_Z23transposeLdsSwapInplaceIfEvPT_PKS0_m,comdat
.Lfunc_end5:
	.size	_Z23transposeLdsSwapInplaceIfEvPT_PKS0_m, .Lfunc_end5-_Z23transposeLdsSwapInplaceIfEvPT_PKS0_m
                                        ; -- End function
	.set _Z23transposeLdsSwapInplaceIfEvPT_PKS0_m.num_vgpr, 11
	.set _Z23transposeLdsSwapInplaceIfEvPT_PKS0_m.num_agpr, 0
	.set _Z23transposeLdsSwapInplaceIfEvPT_PKS0_m.numbered_sgpr, 19
	.set _Z23transposeLdsSwapInplaceIfEvPT_PKS0_m.num_named_barrier, 0
	.set _Z23transposeLdsSwapInplaceIfEvPT_PKS0_m.private_seg_size, 0
	.set _Z23transposeLdsSwapInplaceIfEvPT_PKS0_m.uses_vcc, 1
	.set _Z23transposeLdsSwapInplaceIfEvPT_PKS0_m.uses_flat_scratch, 0
	.set _Z23transposeLdsSwapInplaceIfEvPT_PKS0_m.has_dyn_sized_stack, 0
	.set _Z23transposeLdsSwapInplaceIfEvPT_PKS0_m.has_recursion, 0
	.set _Z23transposeLdsSwapInplaceIfEvPT_PKS0_m.has_indirect_call, 0
	.section	.AMDGPU.csdata,"",@progbits
; Kernel info:
; codeLenInByte = 728
; TotalNumSgprs: 23
; NumVgprs: 11
; ScratchSize: 0
; MemoryBound: 0
; FloatMode: 240
; IeeeMode: 1
; LDSByteSize: 16384 bytes/workgroup (compile time only)
; SGPRBlocks: 8
; VGPRBlocks: 7
; NumSGPRsForWavesPerEU: 65
; NumVGPRsForWavesPerEU: 29
; Occupancy: 8
; WaveLimiterHint : 0
; COMPUTE_PGM_RSRC2:SCRATCH_EN: 0
; COMPUTE_PGM_RSRC2:USER_SGPR: 6
; COMPUTE_PGM_RSRC2:TRAP_HANDLER: 0
; COMPUTE_PGM_RSRC2:TGID_X_EN: 1
; COMPUTE_PGM_RSRC2:TGID_Y_EN: 1
; COMPUTE_PGM_RSRC2:TGID_Z_EN: 0
; COMPUTE_PGM_RSRC2:TIDIG_COMP_CNT: 1
	.section	.text._Z14transposeNaiveIdEvPT_PKS0_m,"axG",@progbits,_Z14transposeNaiveIdEvPT_PKS0_m,comdat
	.protected	_Z14transposeNaiveIdEvPT_PKS0_m ; -- Begin function _Z14transposeNaiveIdEvPT_PKS0_m
	.globl	_Z14transposeNaiveIdEvPT_PKS0_m
	.p2align	8
	.type	_Z14transposeNaiveIdEvPT_PKS0_m,@function
_Z14transposeNaiveIdEvPT_PKS0_m:        ; @_Z14transposeNaiveIdEvPT_PKS0_m
; %bb.0:
	v_cmp_gt_u32_e32 vcc, 64, v1
	s_and_saveexec_b64 s[0:1], vcc
	s_cbranch_execz .LBB6_3
; %bb.1:
	s_load_dwordx2 s[8:9], s[4:5], 0x10
	s_load_dwordx4 s[0:3], s[4:5], 0x0
	v_lshl_add_u32 v5, s6, 6, v0
	s_load_dword s6, s[4:5], 0x24
	v_mov_b32_e32 v6, 0
	s_waitcnt lgkmcnt(0)
	v_mad_u64_u32 v[3:4], s[10:11], s8, v5, 0
	s_mov_b32 s11, 0
	s_lshl_b32 s10, s7, 6
	v_mov_b32_e32 v0, v4
	v_mad_u64_u32 v[7:8], s[4:5], s9, v5, v[0:1]
	v_lshlrev_b32_e32 v0, 3, v1
	s_lshr_b32 s4, s6, 16
	v_mov_b32_e32 v4, v7
	v_lshlrev_b64 v[3:4], 3, v[3:4]
	s_lshl_b64 s[6:7], s[10:11], 3
	v_add_co_u32_e32 v0, vcc, v3, v0
	v_addc_co_u32_e32 v4, vcc, 0, v4, vcc
	s_add_u32 s5, s0, s6
	s_addc_u32 s0, s1, s7
	v_add_co_u32_e32 v3, vcc, s10, v1
	v_mov_b32_e32 v9, s0
	v_addc_co_u32_e64 v7, s[0:1], 0, 0, vcc
	v_mul_lo_u32 v10, s9, v3
	v_mul_lo_u32 v11, s8, v7
	v_mad_u64_u32 v[7:8], s[0:1], s8, v3, 0
	v_mov_b32_e32 v2, v6
	v_add_co_u32_e32 v3, vcc, s5, v0
	v_add3_u32 v8, v8, v11, v10
	v_lshlrev_b64 v[7:8], 3, v[7:8]
	v_lshlrev_b64 v[5:6], 3, v[5:6]
	v_addc_co_u32_e32 v4, vcc, v9, v4, vcc
	v_add_co_u32_e32 v0, vcc, v7, v5
	s_mul_i32 s0, s9, s4
	s_mul_hi_u32 s1, s8, s4
	v_addc_co_u32_e32 v6, vcc, v8, v6, vcc
	s_add_i32 s1, s1, s0
	s_mul_i32 s0, s8, s4
	v_mov_b32_e32 v7, s3
	v_add_co_u32_e32 v5, vcc, s2, v0
	s_lshl_b64 s[0:1], s[0:1], 3
	s_lshl_b32 s5, s4, 3
	v_addc_co_u32_e32 v6, vcc, v7, v6, vcc
	s_mov_b64 s[2:3], 0
	v_mov_b32_e32 v0, s1
.LBB6_2:                                ; =>This Inner Loop Header: Depth=1
	global_load_dwordx2 v[7:8], v[5:6], off
	v_add_co_u32_e32 v1, vcc, s4, v1
	v_addc_co_u32_e32 v2, vcc, 0, v2, vcc
	v_add_co_u32_e32 v5, vcc, s0, v5
	v_addc_co_u32_e32 v6, vcc, v6, v0, vcc
	v_cmp_lt_u64_e32 vcc, 63, v[1:2]
	s_or_b64 s[2:3], vcc, s[2:3]
	s_waitcnt vmcnt(0)
	global_store_dwordx2 v[3:4], v[7:8], off
	v_add_co_u32_e32 v3, vcc, s5, v3
	v_addc_co_u32_e32 v4, vcc, 0, v4, vcc
	s_andn2_b64 exec, exec, s[2:3]
	s_cbranch_execnz .LBB6_2
.LBB6_3:
	s_endpgm
	.section	.rodata,"a",@progbits
	.p2align	6, 0x0
	.amdhsa_kernel _Z14transposeNaiveIdEvPT_PKS0_m
		.amdhsa_group_segment_fixed_size 0
		.amdhsa_private_segment_fixed_size 0
		.amdhsa_kernarg_size 280
		.amdhsa_user_sgpr_count 6
		.amdhsa_user_sgpr_private_segment_buffer 1
		.amdhsa_user_sgpr_dispatch_ptr 0
		.amdhsa_user_sgpr_queue_ptr 0
		.amdhsa_user_sgpr_kernarg_segment_ptr 1
		.amdhsa_user_sgpr_dispatch_id 0
		.amdhsa_user_sgpr_flat_scratch_init 0
		.amdhsa_user_sgpr_private_segment_size 0
		.amdhsa_uses_dynamic_stack 0
		.amdhsa_system_sgpr_private_segment_wavefront_offset 0
		.amdhsa_system_sgpr_workgroup_id_x 1
		.amdhsa_system_sgpr_workgroup_id_y 1
		.amdhsa_system_sgpr_workgroup_id_z 0
		.amdhsa_system_sgpr_workgroup_info 0
		.amdhsa_system_vgpr_workitem_id 1
		.amdhsa_next_free_vgpr 12
		.amdhsa_next_free_sgpr 12
		.amdhsa_reserve_vcc 1
		.amdhsa_reserve_flat_scratch 0
		.amdhsa_float_round_mode_32 0
		.amdhsa_float_round_mode_16_64 0
		.amdhsa_float_denorm_mode_32 3
		.amdhsa_float_denorm_mode_16_64 3
		.amdhsa_dx10_clamp 1
		.amdhsa_ieee_mode 1
		.amdhsa_fp16_overflow 0
		.amdhsa_exception_fp_ieee_invalid_op 0
		.amdhsa_exception_fp_denorm_src 0
		.amdhsa_exception_fp_ieee_div_zero 0
		.amdhsa_exception_fp_ieee_overflow 0
		.amdhsa_exception_fp_ieee_underflow 0
		.amdhsa_exception_fp_ieee_inexact 0
		.amdhsa_exception_int_div_zero 0
	.end_amdhsa_kernel
	.section	.text._Z14transposeNaiveIdEvPT_PKS0_m,"axG",@progbits,_Z14transposeNaiveIdEvPT_PKS0_m,comdat
.Lfunc_end6:
	.size	_Z14transposeNaiveIdEvPT_PKS0_m, .Lfunc_end6-_Z14transposeNaiveIdEvPT_PKS0_m
                                        ; -- End function
	.set _Z14transposeNaiveIdEvPT_PKS0_m.num_vgpr, 12
	.set _Z14transposeNaiveIdEvPT_PKS0_m.num_agpr, 0
	.set _Z14transposeNaiveIdEvPT_PKS0_m.numbered_sgpr, 12
	.set _Z14transposeNaiveIdEvPT_PKS0_m.num_named_barrier, 0
	.set _Z14transposeNaiveIdEvPT_PKS0_m.private_seg_size, 0
	.set _Z14transposeNaiveIdEvPT_PKS0_m.uses_vcc, 1
	.set _Z14transposeNaiveIdEvPT_PKS0_m.uses_flat_scratch, 0
	.set _Z14transposeNaiveIdEvPT_PKS0_m.has_dyn_sized_stack, 0
	.set _Z14transposeNaiveIdEvPT_PKS0_m.has_recursion, 0
	.set _Z14transposeNaiveIdEvPT_PKS0_m.has_indirect_call, 0
	.section	.AMDGPU.csdata,"",@progbits
; Kernel info:
; codeLenInByte = 312
; TotalNumSgprs: 16
; NumVgprs: 12
; ScratchSize: 0
; MemoryBound: 0
; FloatMode: 240
; IeeeMode: 1
; LDSByteSize: 0 bytes/workgroup (compile time only)
; SGPRBlocks: 1
; VGPRBlocks: 2
; NumSGPRsForWavesPerEU: 16
; NumVGPRsForWavesPerEU: 12
; Occupancy: 10
; WaveLimiterHint : 0
; COMPUTE_PGM_RSRC2:SCRATCH_EN: 0
; COMPUTE_PGM_RSRC2:USER_SGPR: 6
; COMPUTE_PGM_RSRC2:TRAP_HANDLER: 0
; COMPUTE_PGM_RSRC2:TGID_X_EN: 1
; COMPUTE_PGM_RSRC2:TGID_Y_EN: 1
; COMPUTE_PGM_RSRC2:TGID_Z_EN: 0
; COMPUTE_PGM_RSRC2:TIDIG_COMP_CNT: 1
	.section	.text._Z27transposeLdsNoBankConflictsIdEvPT_PKS0_m,"axG",@progbits,_Z27transposeLdsNoBankConflictsIdEvPT_PKS0_m,comdat
	.protected	_Z27transposeLdsNoBankConflictsIdEvPT_PKS0_m ; -- Begin function _Z27transposeLdsNoBankConflictsIdEvPT_PKS0_m
	.globl	_Z27transposeLdsNoBankConflictsIdEvPT_PKS0_m
	.p2align	8
	.type	_Z27transposeLdsNoBankConflictsIdEvPT_PKS0_m,@function
_Z27transposeLdsNoBankConflictsIdEvPT_PKS0_m: ; @_Z27transposeLdsNoBankConflictsIdEvPT_PKS0_m
; %bb.0:
	s_load_dwordx2 s[8:9], s[4:5], 0x10
	s_lshl_b32 s7, s7, 6
	v_add_u32_e32 v4, s7, v1
	s_lshl_b32 s10, s6, 6
	v_mov_b32_e32 v5, 0
	s_waitcnt lgkmcnt(0)
	v_mad_u64_u32 v[2:3], s[0:1], s8, v4, 0
	s_load_dwordx4 s[0:3], s[4:5], 0x0
	s_load_dword s11, s[4:5], 0x24
	v_mad_u64_u32 v[3:4], s[4:5], s9, v4, v[3:4]
	v_add_u32_e32 v4, s10, v0
	s_waitcnt lgkmcnt(0)
	v_mov_b32_e32 v6, s3
	v_lshlrev_b64 v[2:3], 3, v[2:3]
	s_lshr_b32 s6, s11, 16
	v_add_co_u32_e32 v7, vcc, s2, v2
	v_addc_co_u32_e32 v6, vcc, v6, v3, vcc
	v_lshlrev_b64 v[2:3], 3, v[4:5]
	v_lshlrev_b32_e32 v4, 3, v0
	s_movk_i32 s2, 0x208
	v_mad_u32_u24 v4, v1, s2, v4
	s_mul_i32 s2, s9, s6
	s_mul_hi_u32 s3, s8, s6
	s_add_i32 s3, s3, s2
	s_mul_i32 s2, s8, s6
	v_add_co_u32_e32 v2, vcc, v7, v2
	s_lshl_b64 s[2:3], s[2:3], 3
	v_addc_co_u32_e32 v3, vcc, v6, v3, vcc
	s_mul_i32 s11, s6, 0x208
	s_mov_b64 s[4:5], 0
	v_mov_b32_e32 v5, s3
.LBB7_1:                                ; =>This Inner Loop Header: Depth=1
	global_load_dwordx2 v[6:7], v[2:3], off
	s_add_u32 s4, s4, s6
	s_addc_u32 s5, s5, 0
	v_add_co_u32_e32 v2, vcc, s2, v2
	v_cmp_gt_u64_e64 s[12:13], s[4:5], 63
	v_addc_co_u32_e32 v3, vcc, v3, v5, vcc
	s_and_b64 vcc, exec, s[12:13]
	s_waitcnt vmcnt(0)
	ds_write_b64 v4, v[6:7]
	v_add_u32_e32 v4, s11, v4
	s_cbranch_vccz .LBB7_1
; %bb.2:
	v_add_u32_e32 v6, s10, v1
	v_mad_u64_u32 v[3:4], s[4:5], s8, v6, 0
	v_lshlrev_b32_e32 v1, 3, v1
	v_add_u32_e32 v5, s7, v0
	v_mov_b32_e32 v2, v4
	v_mad_u64_u32 v[7:8], s[4:5], s9, v6, v[2:3]
	s_movk_i32 s4, 0x208
	v_mad_u32_u24 v2, v0, s4, v1
	v_mov_b32_e32 v4, v7
	v_lshlrev_b64 v[0:1], 3, v[3:4]
	v_mov_b32_e32 v6, 0
	v_mov_b32_e32 v3, s1
	v_add_co_u32_e32 v4, vcc, s0, v0
	v_addc_co_u32_e32 v3, vcc, v3, v1, vcc
	v_lshlrev_b64 v[0:1], 3, v[5:6]
	s_lshl_b32 s7, s6, 3
	v_add_co_u32_e32 v0, vcc, v4, v0
	v_addc_co_u32_e32 v1, vcc, v3, v1, vcc
	s_mov_b64 s[4:5], 0
	v_mov_b32_e32 v3, s3
	s_waitcnt lgkmcnt(0)
	s_barrier
.LBB7_3:                                ; =>This Inner Loop Header: Depth=1
	ds_read_b64 v[4:5], v2
	s_add_u32 s4, s4, s6
	s_addc_u32 s5, s5, 0
	v_cmp_gt_u64_e64 s[0:1], s[4:5], 63
	v_add_u32_e32 v2, s7, v2
	s_and_b64 vcc, exec, s[0:1]
	s_waitcnt lgkmcnt(0)
	global_store_dwordx2 v[0:1], v[4:5], off
	v_add_co_u32_e64 v0, s[0:1], s2, v0
	v_addc_co_u32_e64 v1, s[0:1], v1, v3, s[0:1]
	s_cbranch_vccz .LBB7_3
; %bb.4:
	s_endpgm
	.section	.rodata,"a",@progbits
	.p2align	6, 0x0
	.amdhsa_kernel _Z27transposeLdsNoBankConflictsIdEvPT_PKS0_m
		.amdhsa_group_segment_fixed_size 33280
		.amdhsa_private_segment_fixed_size 0
		.amdhsa_kernarg_size 280
		.amdhsa_user_sgpr_count 6
		.amdhsa_user_sgpr_private_segment_buffer 1
		.amdhsa_user_sgpr_dispatch_ptr 0
		.amdhsa_user_sgpr_queue_ptr 0
		.amdhsa_user_sgpr_kernarg_segment_ptr 1
		.amdhsa_user_sgpr_dispatch_id 0
		.amdhsa_user_sgpr_flat_scratch_init 0
		.amdhsa_user_sgpr_private_segment_size 0
		.amdhsa_uses_dynamic_stack 0
		.amdhsa_system_sgpr_private_segment_wavefront_offset 0
		.amdhsa_system_sgpr_workgroup_id_x 1
		.amdhsa_system_sgpr_workgroup_id_y 1
		.amdhsa_system_sgpr_workgroup_id_z 0
		.amdhsa_system_sgpr_workgroup_info 0
		.amdhsa_system_vgpr_workitem_id 1
		.amdhsa_next_free_vgpr 49
		.amdhsa_next_free_sgpr 98
		.amdhsa_reserve_vcc 1
		.amdhsa_reserve_flat_scratch 0
		.amdhsa_float_round_mode_32 0
		.amdhsa_float_round_mode_16_64 0
		.amdhsa_float_denorm_mode_32 3
		.amdhsa_float_denorm_mode_16_64 3
		.amdhsa_dx10_clamp 1
		.amdhsa_ieee_mode 1
		.amdhsa_fp16_overflow 0
		.amdhsa_exception_fp_ieee_invalid_op 0
		.amdhsa_exception_fp_denorm_src 0
		.amdhsa_exception_fp_ieee_div_zero 0
		.amdhsa_exception_fp_ieee_overflow 0
		.amdhsa_exception_fp_ieee_underflow 0
		.amdhsa_exception_fp_ieee_inexact 0
		.amdhsa_exception_int_div_zero 0
	.end_amdhsa_kernel
	.section	.text._Z27transposeLdsNoBankConflictsIdEvPT_PKS0_m,"axG",@progbits,_Z27transposeLdsNoBankConflictsIdEvPT_PKS0_m,comdat
.Lfunc_end7:
	.size	_Z27transposeLdsNoBankConflictsIdEvPT_PKS0_m, .Lfunc_end7-_Z27transposeLdsNoBankConflictsIdEvPT_PKS0_m
                                        ; -- End function
	.set _Z27transposeLdsNoBankConflictsIdEvPT_PKS0_m.num_vgpr, 9
	.set _Z27transposeLdsNoBankConflictsIdEvPT_PKS0_m.num_agpr, 0
	.set _Z27transposeLdsNoBankConflictsIdEvPT_PKS0_m.numbered_sgpr, 14
	.set _Z27transposeLdsNoBankConflictsIdEvPT_PKS0_m.num_named_barrier, 0
	.set _Z27transposeLdsNoBankConflictsIdEvPT_PKS0_m.private_seg_size, 0
	.set _Z27transposeLdsNoBankConflictsIdEvPT_PKS0_m.uses_vcc, 1
	.set _Z27transposeLdsNoBankConflictsIdEvPT_PKS0_m.uses_flat_scratch, 0
	.set _Z27transposeLdsNoBankConflictsIdEvPT_PKS0_m.has_dyn_sized_stack, 0
	.set _Z27transposeLdsNoBankConflictsIdEvPT_PKS0_m.has_recursion, 0
	.set _Z27transposeLdsNoBankConflictsIdEvPT_PKS0_m.has_indirect_call, 0
	.section	.AMDGPU.csdata,"",@progbits
; Kernel info:
; codeLenInByte = 392
; TotalNumSgprs: 18
; NumVgprs: 9
; ScratchSize: 0
; MemoryBound: 0
; FloatMode: 240
; IeeeMode: 1
; LDSByteSize: 33280 bytes/workgroup (compile time only)
; SGPRBlocks: 12
; VGPRBlocks: 12
; NumSGPRsForWavesPerEU: 102
; NumVGPRsForWavesPerEU: 49
; Occupancy: 4
; WaveLimiterHint : 0
; COMPUTE_PGM_RSRC2:SCRATCH_EN: 0
; COMPUTE_PGM_RSRC2:USER_SGPR: 6
; COMPUTE_PGM_RSRC2:TRAP_HANDLER: 0
; COMPUTE_PGM_RSRC2:TGID_X_EN: 1
; COMPUTE_PGM_RSRC2:TGID_Y_EN: 1
; COMPUTE_PGM_RSRC2:TGID_Z_EN: 0
; COMPUTE_PGM_RSRC2:TIDIG_COMP_CNT: 1
	.section	.text._Z23transposeLdsSwapInplaceIdEvPT_PKS0_m,"axG",@progbits,_Z23transposeLdsSwapInplaceIdEvPT_PKS0_m,comdat
	.protected	_Z23transposeLdsSwapInplaceIdEvPT_PKS0_m ; -- Begin function _Z23transposeLdsSwapInplaceIdEvPT_PKS0_m
	.globl	_Z23transposeLdsSwapInplaceIdEvPT_PKS0_m
	.p2align	8
	.type	_Z23transposeLdsSwapInplaceIdEvPT_PKS0_m,@function
_Z23transposeLdsSwapInplaceIdEvPT_PKS0_m: ; @_Z23transposeLdsSwapInplaceIdEvPT_PKS0_m
; %bb.0:
	s_load_dwordx4 s[8:11], s[4:5], 0x0
	s_load_dwordx2 s[2:3], s[4:5], 0x10
	v_mov_b32_e32 v3, v0
	s_lshl_b32 s6, s6, 6
	v_mov_b32_e32 v2, 0
	v_cmp_gt_u32_e32 vcc, 64, v1
	v_lshlrev_b32_e32 v0, 3, v3
	s_and_saveexec_b64 s[12:13], vcc
	s_cbranch_execz .LBB8_3
; %bb.1:
	s_lshl_b32 s0, s7, 6
	v_add_co_u32_e64 v6, s[0:1], s0, v1
	v_addc_co_u32_e64 v7, s[0:1], 0, 0, s[0:1]
	s_waitcnt lgkmcnt(0)
	v_mul_lo_u32 v9, s3, v6
	v_mul_lo_u32 v10, s2, v7
	v_mad_u64_u32 v[6:7], s[0:1], s2, v6, 0
	v_add_u32_e32 v4, s6, v3
	v_mov_b32_e32 v5, v2
	v_add3_u32 v7, v7, v10, v9
	s_load_dword s14, s[4:5], 0x24
	v_lshlrev_b64 v[6:7], 3, v[6:7]
	v_lshlrev_b64 v[4:5], 3, v[4:5]
	v_lshl_add_u32 v8, v1, 9, v0
	v_add_co_u32_e64 v4, s[0:1], v6, v4
	v_addc_co_u32_e64 v5, s[0:1], v7, v5, s[0:1]
	v_mov_b32_e32 v6, s11
	v_add_co_u32_e64 v4, s[0:1], s10, v4
	s_waitcnt lgkmcnt(0)
	s_lshr_b32 s16, s14, 16
	v_addc_co_u32_e64 v5, s[0:1], v6, v5, s[0:1]
	s_mul_i32 s0, s3, s16
	s_mul_hi_u32 s1, s2, s16
	s_add_i32 s1, s1, s0
	s_mul_i32 s0, s2, s16
	s_lshl_b64 s[10:11], s[0:1], 3
	v_mov_b32_e32 v7, v2
	s_lshl_b32 s17, s16, 9
	s_mov_b64 s[14:15], 0
	v_mov_b32_e32 v9, s11
	v_mov_b32_e32 v6, v1
.LBB8_2:                                ; =>This Inner Loop Header: Depth=1
	global_load_dwordx2 v[10:11], v[4:5], off
	v_add_co_u32_e64 v6, s[0:1], s16, v6
	v_addc_co_u32_e64 v7, s[0:1], 0, v7, s[0:1]
	v_add_co_u32_e64 v4, s[0:1], s10, v4
	v_addc_co_u32_e64 v5, s[0:1], v5, v9, s[0:1]
	v_cmp_lt_u64_e64 s[0:1], 63, v[6:7]
	s_or_b64 s[14:15], s[0:1], s[14:15]
	s_waitcnt vmcnt(0)
	ds_write_b64 v8, v[10:11]
	v_add_u32_e32 v8, s17, v8
	s_andn2_b64 exec, exec, s[14:15]
	s_cbranch_execnz .LBB8_2
.LBB8_3:
	s_or_b64 exec, exec, s[12:13]
	s_waitcnt lgkmcnt(0)
	s_barrier
	s_and_saveexec_b64 s[10:11], vcc
	s_cbranch_execz .LBB8_8
; %bb.4:
	s_load_dword s0, s[4:5], 0x24
	v_mul_u32_u24_e32 v5, 0x1f8, v3
	v_lshlrev_b32_e32 v6, 3, v1
	v_add3_u32 v8, v5, v0, v6
	v_mov_b32_e32 v6, v2
	s_waitcnt lgkmcnt(0)
	s_lshr_b32 s16, s0, 16
	v_mov_b32_e32 v4, 0
	v_lshl_add_u32 v7, v1, 9, v0
	s_lshl_b32 s17, s16, 9
	s_lshl_b32 s18, s16, 3
	s_mov_b64 s[12:13], 0
	v_mov_b32_e32 v5, v1
	s_branch .LBB8_6
.LBB8_5:                                ;   in Loop: Header=BB8_6 Depth=1
	s_or_b64 exec, exec, s[14:15]
	v_add_co_u32_e64 v5, s[0:1], s16, v5
	v_addc_co_u32_e64 v6, s[0:1], 0, v6, s[0:1]
	v_cmp_lt_u64_e64 s[0:1], 63, v[5:6]
	v_add_u32_e32 v7, s17, v7
	s_or_b64 s[12:13], s[0:1], s[12:13]
	v_add_u32_e32 v8, s18, v8
	s_andn2_b64 exec, exec, s[12:13]
	s_cbranch_execz .LBB8_8
.LBB8_6:                                ; =>This Inner Loop Header: Depth=1
	v_cmp_lt_u64_e64 s[0:1], v[5:6], v[3:4]
	s_and_saveexec_b64 s[14:15], s[0:1]
	s_cbranch_execz .LBB8_5
; %bb.7:                                ;   in Loop: Header=BB8_6 Depth=1
	ds_read_b64 v[9:10], v8
	ds_read_b64 v[11:12], v7
	s_waitcnt lgkmcnt(1)
	ds_write_b64 v7, v[9:10]
	s_waitcnt lgkmcnt(1)
	ds_write_b64 v8, v[11:12]
	s_branch .LBB8_5
.LBB8_8:
	s_or_b64 exec, exec, s[10:11]
	s_waitcnt lgkmcnt(0)
	s_barrier
	s_and_saveexec_b64 s[0:1], vcc
	s_cbranch_execz .LBB8_11
; %bb.9:
	v_add_co_u32_e32 v5, vcc, s6, v1
	v_addc_co_u32_e64 v6, s[0:1], 0, 0, vcc
	v_mul_lo_u32 v7, s3, v5
	v_mul_lo_u32 v8, s2, v6
	v_mad_u64_u32 v[5:6], s[0:1], s2, v5, 0
	s_load_dword s4, s[4:5], 0x24
	v_lshl_add_u32 v3, s7, 6, v3
	v_mov_b32_e32 v4, 0
	v_add3_u32 v6, v6, v8, v7
	v_lshlrev_b64 v[5:6], 3, v[5:6]
	v_lshlrev_b64 v[3:4], 3, v[3:4]
	s_waitcnt lgkmcnt(0)
	s_lshr_b32 s4, s4, 16
	v_add_co_u32_e32 v3, vcc, v5, v3
	s_mul_i32 s0, s3, s4
	s_mul_hi_u32 s1, s2, s4
	v_addc_co_u32_e32 v4, vcc, v6, v4, vcc
	s_add_i32 s1, s1, s0
	s_mul_i32 s0, s2, s4
	v_mov_b32_e32 v5, s9
	v_add_co_u32_e32 v3, vcc, s8, v3
	s_lshl_b64 s[0:1], s[0:1], 3
	v_lshl_add_u32 v0, v1, 9, v0
	s_lshl_b32 s5, s4, 9
	v_addc_co_u32_e32 v4, vcc, v5, v4, vcc
	s_mov_b64 s[2:3], 0
	v_mov_b32_e32 v5, s1
.LBB8_10:                               ; =>This Inner Loop Header: Depth=1
	ds_read_b64 v[6:7], v0
	v_add_co_u32_e32 v1, vcc, s4, v1
	v_addc_co_u32_e32 v2, vcc, 0, v2, vcc
	v_cmp_lt_u64_e32 vcc, 63, v[1:2]
	s_waitcnt lgkmcnt(0)
	global_store_dwordx2 v[3:4], v[6:7], off
	s_or_b64 s[2:3], vcc, s[2:3]
	v_add_co_u32_e32 v3, vcc, s0, v3
	v_add_u32_e32 v0, s5, v0
	v_addc_co_u32_e32 v4, vcc, v4, v5, vcc
	s_andn2_b64 exec, exec, s[2:3]
	s_cbranch_execnz .LBB8_10
.LBB8_11:
	s_endpgm
	.section	.rodata,"a",@progbits
	.p2align	6, 0x0
	.amdhsa_kernel _Z23transposeLdsSwapInplaceIdEvPT_PKS0_m
		.amdhsa_group_segment_fixed_size 32768
		.amdhsa_private_segment_fixed_size 0
		.amdhsa_kernarg_size 280
		.amdhsa_user_sgpr_count 6
		.amdhsa_user_sgpr_private_segment_buffer 1
		.amdhsa_user_sgpr_dispatch_ptr 0
		.amdhsa_user_sgpr_queue_ptr 0
		.amdhsa_user_sgpr_kernarg_segment_ptr 1
		.amdhsa_user_sgpr_dispatch_id 0
		.amdhsa_user_sgpr_flat_scratch_init 0
		.amdhsa_user_sgpr_private_segment_size 0
		.amdhsa_uses_dynamic_stack 0
		.amdhsa_system_sgpr_private_segment_wavefront_offset 0
		.amdhsa_system_sgpr_workgroup_id_x 1
		.amdhsa_system_sgpr_workgroup_id_y 1
		.amdhsa_system_sgpr_workgroup_id_z 0
		.amdhsa_system_sgpr_workgroup_info 0
		.amdhsa_system_vgpr_workitem_id 1
		.amdhsa_next_free_vgpr 29
		.amdhsa_next_free_sgpr 61
		.amdhsa_reserve_vcc 1
		.amdhsa_reserve_flat_scratch 0
		.amdhsa_float_round_mode_32 0
		.amdhsa_float_round_mode_16_64 0
		.amdhsa_float_denorm_mode_32 3
		.amdhsa_float_denorm_mode_16_64 3
		.amdhsa_dx10_clamp 1
		.amdhsa_ieee_mode 1
		.amdhsa_fp16_overflow 0
		.amdhsa_exception_fp_ieee_invalid_op 0
		.amdhsa_exception_fp_denorm_src 0
		.amdhsa_exception_fp_ieee_div_zero 0
		.amdhsa_exception_fp_ieee_overflow 0
		.amdhsa_exception_fp_ieee_underflow 0
		.amdhsa_exception_fp_ieee_inexact 0
		.amdhsa_exception_int_div_zero 0
	.end_amdhsa_kernel
	.section	.text._Z23transposeLdsSwapInplaceIdEvPT_PKS0_m,"axG",@progbits,_Z23transposeLdsSwapInplaceIdEvPT_PKS0_m,comdat
.Lfunc_end8:
	.size	_Z23transposeLdsSwapInplaceIdEvPT_PKS0_m, .Lfunc_end8-_Z23transposeLdsSwapInplaceIdEvPT_PKS0_m
                                        ; -- End function
	.set _Z23transposeLdsSwapInplaceIdEvPT_PKS0_m.num_vgpr, 13
	.set _Z23transposeLdsSwapInplaceIdEvPT_PKS0_m.num_agpr, 0
	.set _Z23transposeLdsSwapInplaceIdEvPT_PKS0_m.numbered_sgpr, 19
	.set _Z23transposeLdsSwapInplaceIdEvPT_PKS0_m.num_named_barrier, 0
	.set _Z23transposeLdsSwapInplaceIdEvPT_PKS0_m.private_seg_size, 0
	.set _Z23transposeLdsSwapInplaceIdEvPT_PKS0_m.uses_vcc, 1
	.set _Z23transposeLdsSwapInplaceIdEvPT_PKS0_m.uses_flat_scratch, 0
	.set _Z23transposeLdsSwapInplaceIdEvPT_PKS0_m.has_dyn_sized_stack, 0
	.set _Z23transposeLdsSwapInplaceIdEvPT_PKS0_m.has_recursion, 0
	.set _Z23transposeLdsSwapInplaceIdEvPT_PKS0_m.has_indirect_call, 0
	.section	.AMDGPU.csdata,"",@progbits
; Kernel info:
; codeLenInByte = 728
; TotalNumSgprs: 23
; NumVgprs: 13
; ScratchSize: 0
; MemoryBound: 0
; FloatMode: 240
; IeeeMode: 1
; LDSByteSize: 32768 bytes/workgroup (compile time only)
; SGPRBlocks: 8
; VGPRBlocks: 7
; NumSGPRsForWavesPerEU: 65
; NumVGPRsForWavesPerEU: 29
; Occupancy: 8
; WaveLimiterHint : 0
; COMPUTE_PGM_RSRC2:SCRATCH_EN: 0
; COMPUTE_PGM_RSRC2:USER_SGPR: 6
; COMPUTE_PGM_RSRC2:TRAP_HANDLER: 0
; COMPUTE_PGM_RSRC2:TGID_X_EN: 1
; COMPUTE_PGM_RSRC2:TGID_Y_EN: 1
; COMPUTE_PGM_RSRC2:TGID_Z_EN: 0
; COMPUTE_PGM_RSRC2:TIDIG_COMP_CNT: 1
	.section	.AMDGPU.gpr_maximums,"",@progbits
	.set amdgpu.max_num_vgpr, 0
	.set amdgpu.max_num_agpr, 0
	.set amdgpu.max_num_sgpr, 0
	.section	.AMDGPU.csdata,"",@progbits
	.type	__hip_cuid_bf1b791ce57ca931,@object ; @__hip_cuid_bf1b791ce57ca931
	.section	.bss,"aw",@nobits
	.globl	__hip_cuid_bf1b791ce57ca931
__hip_cuid_bf1b791ce57ca931:
	.byte	0                               ; 0x0
	.size	__hip_cuid_bf1b791ce57ca931, 1

	.ident	"AMD clang version 22.0.0git (https://github.com/RadeonOpenCompute/llvm-project roc-7.2.4 26084 f58b06dce1f9c15707c5f808fd002e18c2accf7e)"
	.section	".note.GNU-stack","",@progbits
	.addrsig
	.addrsig_sym __hip_cuid_bf1b791ce57ca931
	.amdgpu_metadata
---
amdhsa.kernels:
  - .args:
      - .address_space:  global
        .offset:         0
        .size:           8
        .value_kind:     global_buffer
      - .address_space:  global
        .offset:         8
        .size:           8
        .value_kind:     global_buffer
      - .offset:         16
        .size:           8
        .value_kind:     by_value
      - .offset:         24
        .size:           4
        .value_kind:     hidden_block_count_x
      - .offset:         28
        .size:           4
        .value_kind:     hidden_block_count_y
      - .offset:         32
        .size:           4
        .value_kind:     hidden_block_count_z
      - .offset:         36
        .size:           2
        .value_kind:     hidden_group_size_x
      - .offset:         38
        .size:           2
        .value_kind:     hidden_group_size_y
      - .offset:         40
        .size:           2
        .value_kind:     hidden_group_size_z
      - .offset:         42
        .size:           2
        .value_kind:     hidden_remainder_x
      - .offset:         44
        .size:           2
        .value_kind:     hidden_remainder_y
      - .offset:         46
        .size:           2
        .value_kind:     hidden_remainder_z
      - .offset:         64
        .size:           8
        .value_kind:     hidden_global_offset_x
      - .offset:         72
        .size:           8
        .value_kind:     hidden_global_offset_y
      - .offset:         80
        .size:           8
        .value_kind:     hidden_global_offset_z
      - .offset:         88
        .size:           2
        .value_kind:     hidden_grid_dims
    .group_segment_fixed_size: 0
    .kernarg_segment_align: 8
    .kernarg_segment_size: 280
    .language:       OpenCL C
    .language_version:
      - 2
      - 0
    .max_flat_workgroup_size: 1024
    .name:           _Z14transposeNaiveIiEvPT_PKS0_m
    .private_segment_fixed_size: 0
    .sgpr_count:     16
    .sgpr_spill_count: 0
    .symbol:         _Z14transposeNaiveIiEvPT_PKS0_m.kd
    .uniform_work_group_size: 1
    .uses_dynamic_stack: false
    .vgpr_count:     12
    .vgpr_spill_count: 0
    .wavefront_size: 64
  - .args:
      - .address_space:  global
        .offset:         0
        .size:           8
        .value_kind:     global_buffer
      - .address_space:  global
        .offset:         8
        .size:           8
        .value_kind:     global_buffer
      - .offset:         16
        .size:           8
        .value_kind:     by_value
      - .offset:         24
        .size:           4
        .value_kind:     hidden_block_count_x
      - .offset:         28
        .size:           4
        .value_kind:     hidden_block_count_y
      - .offset:         32
        .size:           4
        .value_kind:     hidden_block_count_z
      - .offset:         36
        .size:           2
        .value_kind:     hidden_group_size_x
      - .offset:         38
        .size:           2
        .value_kind:     hidden_group_size_y
      - .offset:         40
        .size:           2
        .value_kind:     hidden_group_size_z
      - .offset:         42
        .size:           2
        .value_kind:     hidden_remainder_x
      - .offset:         44
        .size:           2
        .value_kind:     hidden_remainder_y
      - .offset:         46
        .size:           2
        .value_kind:     hidden_remainder_z
      - .offset:         64
        .size:           8
        .value_kind:     hidden_global_offset_x
      - .offset:         72
        .size:           8
        .value_kind:     hidden_global_offset_y
      - .offset:         80
        .size:           8
        .value_kind:     hidden_global_offset_z
      - .offset:         88
        .size:           2
        .value_kind:     hidden_grid_dims
    .group_segment_fixed_size: 16640
    .kernarg_segment_align: 8
    .kernarg_segment_size: 280
    .language:       OpenCL C
    .language_version:
      - 2
      - 0
    .max_flat_workgroup_size: 1024
    .name:           _Z27transposeLdsNoBankConflictsIiEvPT_PKS0_m
    .private_segment_fixed_size: 0
    .sgpr_count:     18
    .sgpr_spill_count: 0
    .symbol:         _Z27transposeLdsNoBankConflictsIiEvPT_PKS0_m.kd
    .uniform_work_group_size: 1
    .uses_dynamic_stack: false
    .vgpr_count:     9
    .vgpr_spill_count: 0
    .wavefront_size: 64
  - .args:
      - .address_space:  global
        .offset:         0
        .size:           8
        .value_kind:     global_buffer
      - .address_space:  global
        .offset:         8
        .size:           8
        .value_kind:     global_buffer
      - .offset:         16
        .size:           8
        .value_kind:     by_value
      - .offset:         24
        .size:           4
        .value_kind:     hidden_block_count_x
      - .offset:         28
        .size:           4
        .value_kind:     hidden_block_count_y
      - .offset:         32
        .size:           4
        .value_kind:     hidden_block_count_z
      - .offset:         36
        .size:           2
        .value_kind:     hidden_group_size_x
      - .offset:         38
        .size:           2
        .value_kind:     hidden_group_size_y
      - .offset:         40
        .size:           2
        .value_kind:     hidden_group_size_z
      - .offset:         42
        .size:           2
        .value_kind:     hidden_remainder_x
      - .offset:         44
        .size:           2
        .value_kind:     hidden_remainder_y
      - .offset:         46
        .size:           2
        .value_kind:     hidden_remainder_z
      - .offset:         64
        .size:           8
        .value_kind:     hidden_global_offset_x
      - .offset:         72
        .size:           8
        .value_kind:     hidden_global_offset_y
      - .offset:         80
        .size:           8
        .value_kind:     hidden_global_offset_z
      - .offset:         88
        .size:           2
        .value_kind:     hidden_grid_dims
    .group_segment_fixed_size: 16384
    .kernarg_segment_align: 8
    .kernarg_segment_size: 280
    .language:       OpenCL C
    .language_version:
      - 2
      - 0
    .max_flat_workgroup_size: 1024
    .name:           _Z23transposeLdsSwapInplaceIiEvPT_PKS0_m
    .private_segment_fixed_size: 0
    .sgpr_count:     23
    .sgpr_spill_count: 0
    .symbol:         _Z23transposeLdsSwapInplaceIiEvPT_PKS0_m.kd
    .uniform_work_group_size: 1
    .uses_dynamic_stack: false
    .vgpr_count:     11
    .vgpr_spill_count: 0
    .wavefront_size: 64
  - .args:
      - .address_space:  global
        .offset:         0
        .size:           8
        .value_kind:     global_buffer
      - .address_space:  global
        .offset:         8
        .size:           8
        .value_kind:     global_buffer
      - .offset:         16
        .size:           8
        .value_kind:     by_value
      - .offset:         24
        .size:           4
        .value_kind:     hidden_block_count_x
      - .offset:         28
        .size:           4
        .value_kind:     hidden_block_count_y
      - .offset:         32
        .size:           4
        .value_kind:     hidden_block_count_z
      - .offset:         36
        .size:           2
        .value_kind:     hidden_group_size_x
      - .offset:         38
        .size:           2
        .value_kind:     hidden_group_size_y
      - .offset:         40
        .size:           2
        .value_kind:     hidden_group_size_z
      - .offset:         42
        .size:           2
        .value_kind:     hidden_remainder_x
      - .offset:         44
        .size:           2
        .value_kind:     hidden_remainder_y
      - .offset:         46
        .size:           2
        .value_kind:     hidden_remainder_z
      - .offset:         64
        .size:           8
        .value_kind:     hidden_global_offset_x
      - .offset:         72
        .size:           8
        .value_kind:     hidden_global_offset_y
      - .offset:         80
        .size:           8
        .value_kind:     hidden_global_offset_z
      - .offset:         88
        .size:           2
        .value_kind:     hidden_grid_dims
    .group_segment_fixed_size: 0
    .kernarg_segment_align: 8
    .kernarg_segment_size: 280
    .language:       OpenCL C
    .language_version:
      - 2
      - 0
    .max_flat_workgroup_size: 1024
    .name:           _Z14transposeNaiveIfEvPT_PKS0_m
    .private_segment_fixed_size: 0
    .sgpr_count:     16
    .sgpr_spill_count: 0
    .symbol:         _Z14transposeNaiveIfEvPT_PKS0_m.kd
    .uniform_work_group_size: 1
    .uses_dynamic_stack: false
    .vgpr_count:     12
    .vgpr_spill_count: 0
    .wavefront_size: 64
  - .args:
      - .address_space:  global
        .offset:         0
        .size:           8
        .value_kind:     global_buffer
      - .address_space:  global
        .offset:         8
        .size:           8
        .value_kind:     global_buffer
      - .offset:         16
        .size:           8
        .value_kind:     by_value
      - .offset:         24
        .size:           4
        .value_kind:     hidden_block_count_x
      - .offset:         28
        .size:           4
        .value_kind:     hidden_block_count_y
      - .offset:         32
        .size:           4
        .value_kind:     hidden_block_count_z
      - .offset:         36
        .size:           2
        .value_kind:     hidden_group_size_x
      - .offset:         38
        .size:           2
        .value_kind:     hidden_group_size_y
      - .offset:         40
        .size:           2
        .value_kind:     hidden_group_size_z
      - .offset:         42
        .size:           2
        .value_kind:     hidden_remainder_x
      - .offset:         44
        .size:           2
        .value_kind:     hidden_remainder_y
      - .offset:         46
        .size:           2
        .value_kind:     hidden_remainder_z
      - .offset:         64
        .size:           8
        .value_kind:     hidden_global_offset_x
      - .offset:         72
        .size:           8
        .value_kind:     hidden_global_offset_y
      - .offset:         80
        .size:           8
        .value_kind:     hidden_global_offset_z
      - .offset:         88
        .size:           2
        .value_kind:     hidden_grid_dims
    .group_segment_fixed_size: 16640
    .kernarg_segment_align: 8
    .kernarg_segment_size: 280
    .language:       OpenCL C
    .language_version:
      - 2
      - 0
    .max_flat_workgroup_size: 1024
    .name:           _Z27transposeLdsNoBankConflictsIfEvPT_PKS0_m
    .private_segment_fixed_size: 0
    .sgpr_count:     18
    .sgpr_spill_count: 0
    .symbol:         _Z27transposeLdsNoBankConflictsIfEvPT_PKS0_m.kd
    .uniform_work_group_size: 1
    .uses_dynamic_stack: false
    .vgpr_count:     9
    .vgpr_spill_count: 0
    .wavefront_size: 64
  - .args:
      - .address_space:  global
        .offset:         0
        .size:           8
        .value_kind:     global_buffer
      - .address_space:  global
        .offset:         8
        .size:           8
        .value_kind:     global_buffer
      - .offset:         16
        .size:           8
        .value_kind:     by_value
      - .offset:         24
        .size:           4
        .value_kind:     hidden_block_count_x
      - .offset:         28
        .size:           4
        .value_kind:     hidden_block_count_y
      - .offset:         32
        .size:           4
        .value_kind:     hidden_block_count_z
      - .offset:         36
        .size:           2
        .value_kind:     hidden_group_size_x
      - .offset:         38
        .size:           2
        .value_kind:     hidden_group_size_y
      - .offset:         40
        .size:           2
        .value_kind:     hidden_group_size_z
      - .offset:         42
        .size:           2
        .value_kind:     hidden_remainder_x
      - .offset:         44
        .size:           2
        .value_kind:     hidden_remainder_y
      - .offset:         46
        .size:           2
        .value_kind:     hidden_remainder_z
      - .offset:         64
        .size:           8
        .value_kind:     hidden_global_offset_x
      - .offset:         72
        .size:           8
        .value_kind:     hidden_global_offset_y
      - .offset:         80
        .size:           8
        .value_kind:     hidden_global_offset_z
      - .offset:         88
        .size:           2
        .value_kind:     hidden_grid_dims
    .group_segment_fixed_size: 16384
    .kernarg_segment_align: 8
    .kernarg_segment_size: 280
    .language:       OpenCL C
    .language_version:
      - 2
      - 0
    .max_flat_workgroup_size: 1024
    .name:           _Z23transposeLdsSwapInplaceIfEvPT_PKS0_m
    .private_segment_fixed_size: 0
    .sgpr_count:     23
    .sgpr_spill_count: 0
    .symbol:         _Z23transposeLdsSwapInplaceIfEvPT_PKS0_m.kd
    .uniform_work_group_size: 1
    .uses_dynamic_stack: false
    .vgpr_count:     11
    .vgpr_spill_count: 0
    .wavefront_size: 64
  - .args:
      - .address_space:  global
        .offset:         0
        .size:           8
        .value_kind:     global_buffer
      - .address_space:  global
        .offset:         8
        .size:           8
        .value_kind:     global_buffer
      - .offset:         16
        .size:           8
        .value_kind:     by_value
      - .offset:         24
        .size:           4
        .value_kind:     hidden_block_count_x
      - .offset:         28
        .size:           4
        .value_kind:     hidden_block_count_y
      - .offset:         32
        .size:           4
        .value_kind:     hidden_block_count_z
      - .offset:         36
        .size:           2
        .value_kind:     hidden_group_size_x
      - .offset:         38
        .size:           2
        .value_kind:     hidden_group_size_y
      - .offset:         40
        .size:           2
        .value_kind:     hidden_group_size_z
      - .offset:         42
        .size:           2
        .value_kind:     hidden_remainder_x
      - .offset:         44
        .size:           2
        .value_kind:     hidden_remainder_y
      - .offset:         46
        .size:           2
        .value_kind:     hidden_remainder_z
      - .offset:         64
        .size:           8
        .value_kind:     hidden_global_offset_x
      - .offset:         72
        .size:           8
        .value_kind:     hidden_global_offset_y
      - .offset:         80
        .size:           8
        .value_kind:     hidden_global_offset_z
      - .offset:         88
        .size:           2
        .value_kind:     hidden_grid_dims
    .group_segment_fixed_size: 0
    .kernarg_segment_align: 8
    .kernarg_segment_size: 280
    .language:       OpenCL C
    .language_version:
      - 2
      - 0
    .max_flat_workgroup_size: 1024
    .name:           _Z14transposeNaiveIdEvPT_PKS0_m
    .private_segment_fixed_size: 0
    .sgpr_count:     16
    .sgpr_spill_count: 0
    .symbol:         _Z14transposeNaiveIdEvPT_PKS0_m.kd
    .uniform_work_group_size: 1
    .uses_dynamic_stack: false
    .vgpr_count:     12
    .vgpr_spill_count: 0
    .wavefront_size: 64
  - .args:
      - .address_space:  global
        .offset:         0
        .size:           8
        .value_kind:     global_buffer
      - .address_space:  global
        .offset:         8
        .size:           8
        .value_kind:     global_buffer
      - .offset:         16
        .size:           8
        .value_kind:     by_value
      - .offset:         24
        .size:           4
        .value_kind:     hidden_block_count_x
      - .offset:         28
        .size:           4
        .value_kind:     hidden_block_count_y
      - .offset:         32
        .size:           4
        .value_kind:     hidden_block_count_z
      - .offset:         36
        .size:           2
        .value_kind:     hidden_group_size_x
      - .offset:         38
        .size:           2
        .value_kind:     hidden_group_size_y
      - .offset:         40
        .size:           2
        .value_kind:     hidden_group_size_z
      - .offset:         42
        .size:           2
        .value_kind:     hidden_remainder_x
      - .offset:         44
        .size:           2
        .value_kind:     hidden_remainder_y
      - .offset:         46
        .size:           2
        .value_kind:     hidden_remainder_z
      - .offset:         64
        .size:           8
        .value_kind:     hidden_global_offset_x
      - .offset:         72
        .size:           8
        .value_kind:     hidden_global_offset_y
      - .offset:         80
        .size:           8
        .value_kind:     hidden_global_offset_z
      - .offset:         88
        .size:           2
        .value_kind:     hidden_grid_dims
    .group_segment_fixed_size: 33280
    .kernarg_segment_align: 8
    .kernarg_segment_size: 280
    .language:       OpenCL C
    .language_version:
      - 2
      - 0
    .max_flat_workgroup_size: 1024
    .name:           _Z27transposeLdsNoBankConflictsIdEvPT_PKS0_m
    .private_segment_fixed_size: 0
    .sgpr_count:     18
    .sgpr_spill_count: 0
    .symbol:         _Z27transposeLdsNoBankConflictsIdEvPT_PKS0_m.kd
    .uniform_work_group_size: 1
    .uses_dynamic_stack: false
    .vgpr_count:     9
    .vgpr_spill_count: 0
    .wavefront_size: 64
  - .args:
      - .address_space:  global
        .offset:         0
        .size:           8
        .value_kind:     global_buffer
      - .address_space:  global
        .offset:         8
        .size:           8
        .value_kind:     global_buffer
      - .offset:         16
        .size:           8
        .value_kind:     by_value
      - .offset:         24
        .size:           4
        .value_kind:     hidden_block_count_x
      - .offset:         28
        .size:           4
        .value_kind:     hidden_block_count_y
      - .offset:         32
        .size:           4
        .value_kind:     hidden_block_count_z
      - .offset:         36
        .size:           2
        .value_kind:     hidden_group_size_x
      - .offset:         38
        .size:           2
        .value_kind:     hidden_group_size_y
      - .offset:         40
        .size:           2
        .value_kind:     hidden_group_size_z
      - .offset:         42
        .size:           2
        .value_kind:     hidden_remainder_x
      - .offset:         44
        .size:           2
        .value_kind:     hidden_remainder_y
      - .offset:         46
        .size:           2
        .value_kind:     hidden_remainder_z
      - .offset:         64
        .size:           8
        .value_kind:     hidden_global_offset_x
      - .offset:         72
        .size:           8
        .value_kind:     hidden_global_offset_y
      - .offset:         80
        .size:           8
        .value_kind:     hidden_global_offset_z
      - .offset:         88
        .size:           2
        .value_kind:     hidden_grid_dims
    .group_segment_fixed_size: 32768
    .kernarg_segment_align: 8
    .kernarg_segment_size: 280
    .language:       OpenCL C
    .language_version:
      - 2
      - 0
    .max_flat_workgroup_size: 1024
    .name:           _Z23transposeLdsSwapInplaceIdEvPT_PKS0_m
    .private_segment_fixed_size: 0
    .sgpr_count:     23
    .sgpr_spill_count: 0
    .symbol:         _Z23transposeLdsSwapInplaceIdEvPT_PKS0_m.kd
    .uniform_work_group_size: 1
    .uses_dynamic_stack: false
    .vgpr_count:     13
    .vgpr_spill_count: 0
    .wavefront_size: 64
amdhsa.target:   amdgcn-amd-amdhsa--gfx906
amdhsa.version:
  - 1
  - 2
...

	.end_amdgpu_metadata
